;; amdgpu-corpus repo=ROCm/rocFFT kind=compiled arch=gfx1030 opt=O3
	.text
	.amdgcn_target "amdgcn-amd-amdhsa--gfx1030"
	.amdhsa_code_object_version 6
	.protected	fft_rtc_back_len1960_factors_4_7_2_7_5_wgs_56_tpt_56_halfLds_sp_ip_CI_unitstride_sbrr_C2R_dirReg ; -- Begin function fft_rtc_back_len1960_factors_4_7_2_7_5_wgs_56_tpt_56_halfLds_sp_ip_CI_unitstride_sbrr_C2R_dirReg
	.globl	fft_rtc_back_len1960_factors_4_7_2_7_5_wgs_56_tpt_56_halfLds_sp_ip_CI_unitstride_sbrr_C2R_dirReg
	.p2align	8
	.type	fft_rtc_back_len1960_factors_4_7_2_7_5_wgs_56_tpt_56_halfLds_sp_ip_CI_unitstride_sbrr_C2R_dirReg,@function
fft_rtc_back_len1960_factors_4_7_2_7_5_wgs_56_tpt_56_halfLds_sp_ip_CI_unitstride_sbrr_C2R_dirReg: ; @fft_rtc_back_len1960_factors_4_7_2_7_5_wgs_56_tpt_56_halfLds_sp_ip_CI_unitstride_sbrr_C2R_dirReg
; %bb.0:
	s_clause 0x2
	s_load_dwordx4 s[8:11], s[4:5], 0x0
	s_load_dwordx2 s[2:3], s[4:5], 0x50
	s_load_dwordx2 s[12:13], s[4:5], 0x18
	v_mul_u32_u24_e32 v1, 0x493, v0
	v_mov_b32_e32 v3, 0
	v_add_nc_u32_sdwa v5, s6, v1 dst_sel:DWORD dst_unused:UNUSED_PAD src0_sel:DWORD src1_sel:WORD_1
	v_mov_b32_e32 v1, 0
	v_mov_b32_e32 v6, v3
	v_mov_b32_e32 v2, 0
	s_waitcnt lgkmcnt(0)
	v_cmp_lt_u64_e64 s0, s[10:11], 2
	s_and_b32 vcc_lo, exec_lo, s0
	s_cbranch_vccnz .LBB0_8
; %bb.1:
	s_load_dwordx2 s[0:1], s[4:5], 0x10
	v_mov_b32_e32 v1, 0
	s_add_u32 s6, s12, 8
	v_mov_b32_e32 v2, 0
	s_addc_u32 s7, s13, 0
	s_mov_b64 s[16:17], 1
	s_waitcnt lgkmcnt(0)
	s_add_u32 s14, s0, 8
	s_addc_u32 s15, s1, 0
.LBB0_2:                                ; =>This Inner Loop Header: Depth=1
	s_load_dwordx2 s[18:19], s[14:15], 0x0
                                        ; implicit-def: $vgpr7_vgpr8
	s_mov_b32 s0, exec_lo
	s_waitcnt lgkmcnt(0)
	v_or_b32_e32 v4, s19, v6
	v_cmpx_ne_u64_e32 0, v[3:4]
	s_xor_b32 s1, exec_lo, s0
	s_cbranch_execz .LBB0_4
; %bb.3:                                ;   in Loop: Header=BB0_2 Depth=1
	v_cvt_f32_u32_e32 v4, s18
	v_cvt_f32_u32_e32 v7, s19
	s_sub_u32 s0, 0, s18
	s_subb_u32 s20, 0, s19
	v_fmac_f32_e32 v4, 0x4f800000, v7
	v_rcp_f32_e32 v4, v4
	v_mul_f32_e32 v4, 0x5f7ffffc, v4
	v_mul_f32_e32 v7, 0x2f800000, v4
	v_trunc_f32_e32 v7, v7
	v_fmac_f32_e32 v4, 0xcf800000, v7
	v_cvt_u32_f32_e32 v7, v7
	v_cvt_u32_f32_e32 v4, v4
	v_mul_lo_u32 v8, s0, v7
	v_mul_hi_u32 v9, s0, v4
	v_mul_lo_u32 v10, s20, v4
	v_add_nc_u32_e32 v8, v9, v8
	v_mul_lo_u32 v9, s0, v4
	v_add_nc_u32_e32 v8, v8, v10
	v_mul_hi_u32 v10, v4, v9
	v_mul_lo_u32 v11, v4, v8
	v_mul_hi_u32 v12, v4, v8
	v_mul_hi_u32 v13, v7, v9
	v_mul_lo_u32 v9, v7, v9
	v_mul_hi_u32 v14, v7, v8
	v_mul_lo_u32 v8, v7, v8
	v_add_co_u32 v10, vcc_lo, v10, v11
	v_add_co_ci_u32_e32 v11, vcc_lo, 0, v12, vcc_lo
	v_add_co_u32 v9, vcc_lo, v10, v9
	v_add_co_ci_u32_e32 v9, vcc_lo, v11, v13, vcc_lo
	v_add_co_ci_u32_e32 v10, vcc_lo, 0, v14, vcc_lo
	v_add_co_u32 v8, vcc_lo, v9, v8
	v_add_co_ci_u32_e32 v9, vcc_lo, 0, v10, vcc_lo
	v_add_co_u32 v4, vcc_lo, v4, v8
	v_add_co_ci_u32_e32 v7, vcc_lo, v7, v9, vcc_lo
	v_mul_hi_u32 v8, s0, v4
	v_mul_lo_u32 v10, s20, v4
	v_mul_lo_u32 v9, s0, v7
	v_add_nc_u32_e32 v8, v8, v9
	v_mul_lo_u32 v9, s0, v4
	v_add_nc_u32_e32 v8, v8, v10
	v_mul_hi_u32 v10, v4, v9
	v_mul_lo_u32 v11, v4, v8
	v_mul_hi_u32 v12, v4, v8
	v_mul_hi_u32 v13, v7, v9
	v_mul_lo_u32 v9, v7, v9
	v_mul_hi_u32 v14, v7, v8
	v_mul_lo_u32 v8, v7, v8
	v_add_co_u32 v10, vcc_lo, v10, v11
	v_add_co_ci_u32_e32 v11, vcc_lo, 0, v12, vcc_lo
	v_add_co_u32 v9, vcc_lo, v10, v9
	v_add_co_ci_u32_e32 v9, vcc_lo, v11, v13, vcc_lo
	v_add_co_ci_u32_e32 v10, vcc_lo, 0, v14, vcc_lo
	v_add_co_u32 v8, vcc_lo, v9, v8
	v_add_co_ci_u32_e32 v9, vcc_lo, 0, v10, vcc_lo
	v_add_co_u32 v4, vcc_lo, v4, v8
	v_add_co_ci_u32_e32 v11, vcc_lo, v7, v9, vcc_lo
	v_mul_hi_u32 v13, v5, v4
	v_mad_u64_u32 v[9:10], null, v6, v4, 0
	v_mad_u64_u32 v[7:8], null, v5, v11, 0
	;; [unrolled: 1-line block ×3, first 2 shown]
	v_add_co_u32 v4, vcc_lo, v13, v7
	v_add_co_ci_u32_e32 v7, vcc_lo, 0, v8, vcc_lo
	v_add_co_u32 v4, vcc_lo, v4, v9
	v_add_co_ci_u32_e32 v4, vcc_lo, v7, v10, vcc_lo
	v_add_co_ci_u32_e32 v7, vcc_lo, 0, v12, vcc_lo
	v_add_co_u32 v4, vcc_lo, v4, v11
	v_add_co_ci_u32_e32 v9, vcc_lo, 0, v7, vcc_lo
	v_mul_lo_u32 v10, s19, v4
	v_mad_u64_u32 v[7:8], null, s18, v4, 0
	v_mul_lo_u32 v11, s18, v9
	v_sub_co_u32 v7, vcc_lo, v5, v7
	v_add3_u32 v8, v8, v11, v10
	v_sub_nc_u32_e32 v10, v6, v8
	v_subrev_co_ci_u32_e64 v10, s0, s19, v10, vcc_lo
	v_add_co_u32 v11, s0, v4, 2
	v_add_co_ci_u32_e64 v12, s0, 0, v9, s0
	v_sub_co_u32 v13, s0, v7, s18
	v_sub_co_ci_u32_e32 v8, vcc_lo, v6, v8, vcc_lo
	v_subrev_co_ci_u32_e64 v10, s0, 0, v10, s0
	v_cmp_le_u32_e32 vcc_lo, s18, v13
	v_cmp_eq_u32_e64 s0, s19, v8
	v_cndmask_b32_e64 v13, 0, -1, vcc_lo
	v_cmp_le_u32_e32 vcc_lo, s19, v10
	v_cndmask_b32_e64 v14, 0, -1, vcc_lo
	v_cmp_le_u32_e32 vcc_lo, s18, v7
	;; [unrolled: 2-line block ×3, first 2 shown]
	v_cndmask_b32_e64 v15, 0, -1, vcc_lo
	v_cmp_eq_u32_e32 vcc_lo, s19, v10
	v_cndmask_b32_e64 v7, v15, v7, s0
	v_cndmask_b32_e32 v10, v14, v13, vcc_lo
	v_add_co_u32 v13, vcc_lo, v4, 1
	v_add_co_ci_u32_e32 v14, vcc_lo, 0, v9, vcc_lo
	v_cmp_ne_u32_e32 vcc_lo, 0, v10
	v_cndmask_b32_e32 v8, v14, v12, vcc_lo
	v_cndmask_b32_e32 v10, v13, v11, vcc_lo
	v_cmp_ne_u32_e32 vcc_lo, 0, v7
	v_cndmask_b32_e32 v8, v9, v8, vcc_lo
	v_cndmask_b32_e32 v7, v4, v10, vcc_lo
.LBB0_4:                                ;   in Loop: Header=BB0_2 Depth=1
	s_andn2_saveexec_b32 s0, s1
	s_cbranch_execz .LBB0_6
; %bb.5:                                ;   in Loop: Header=BB0_2 Depth=1
	v_cvt_f32_u32_e32 v4, s18
	s_sub_i32 s1, 0, s18
	v_rcp_iflag_f32_e32 v4, v4
	v_mul_f32_e32 v4, 0x4f7ffffe, v4
	v_cvt_u32_f32_e32 v4, v4
	v_mul_lo_u32 v7, s1, v4
	v_mul_hi_u32 v7, v4, v7
	v_add_nc_u32_e32 v4, v4, v7
	v_mul_hi_u32 v4, v5, v4
	v_mul_lo_u32 v7, v4, s18
	v_add_nc_u32_e32 v8, 1, v4
	v_sub_nc_u32_e32 v7, v5, v7
	v_subrev_nc_u32_e32 v9, s18, v7
	v_cmp_le_u32_e32 vcc_lo, s18, v7
	v_cndmask_b32_e32 v7, v7, v9, vcc_lo
	v_cndmask_b32_e32 v4, v4, v8, vcc_lo
	v_cmp_le_u32_e32 vcc_lo, s18, v7
	v_add_nc_u32_e32 v8, 1, v4
	v_cndmask_b32_e32 v7, v4, v8, vcc_lo
	v_mov_b32_e32 v8, v3
.LBB0_6:                                ;   in Loop: Header=BB0_2 Depth=1
	s_or_b32 exec_lo, exec_lo, s0
	s_load_dwordx2 s[0:1], s[6:7], 0x0
	v_mul_lo_u32 v4, v8, s18
	v_mul_lo_u32 v11, v7, s19
	v_mad_u64_u32 v[9:10], null, v7, s18, 0
	s_add_u32 s16, s16, 1
	s_addc_u32 s17, s17, 0
	s_add_u32 s6, s6, 8
	s_addc_u32 s7, s7, 0
	;; [unrolled: 2-line block ×3, first 2 shown]
	v_add3_u32 v4, v10, v11, v4
	v_sub_co_u32 v5, vcc_lo, v5, v9
	v_sub_co_ci_u32_e32 v4, vcc_lo, v6, v4, vcc_lo
	s_waitcnt lgkmcnt(0)
	v_mul_lo_u32 v6, s1, v5
	v_mul_lo_u32 v4, s0, v4
	v_mad_u64_u32 v[1:2], null, s0, v5, v[1:2]
	v_cmp_ge_u64_e64 s0, s[16:17], s[10:11]
	s_and_b32 vcc_lo, exec_lo, s0
	v_add3_u32 v2, v6, v2, v4
	s_cbranch_vccnz .LBB0_9
; %bb.7:                                ;   in Loop: Header=BB0_2 Depth=1
	v_mov_b32_e32 v5, v7
	v_mov_b32_e32 v6, v8
	s_branch .LBB0_2
.LBB0_8:
	v_mov_b32_e32 v8, v6
	v_mov_b32_e32 v7, v5
.LBB0_9:
	s_lshl_b64 s[0:1], s[10:11], 3
	v_mul_hi_u32 v5, 0x4924925, v0
	s_add_u32 s0, s12, s0
	s_addc_u32 s1, s13, s1
	s_load_dwordx2 s[0:1], s[0:1], 0x0
	s_load_dwordx2 s[4:5], s[4:5], 0x20
	s_waitcnt lgkmcnt(0)
	v_mul_lo_u32 v3, s0, v8
	v_mul_lo_u32 v4, s1, v7
	v_mad_u64_u32 v[1:2], null, s0, v7, v[1:2]
	v_cmp_gt_u64_e32 vcc_lo, s[4:5], v[7:8]
	v_add3_u32 v2, v4, v2, v3
	v_mul_u32_u24_e32 v3, 56, v5
	v_lshlrev_b64 v[70:71], 3, v[1:2]
	v_sub_nc_u32_e32 v68, v0, v3
	s_and_saveexec_b32 s1, vcc_lo
	s_cbranch_execz .LBB0_13
; %bb.10:
	v_mov_b32_e32 v69, 0
	v_add_co_u32 v0, s0, s2, v70
	v_add_co_ci_u32_e64 v1, s0, s3, v71, s0
	v_lshlrev_b64 v[2:3], 3, v[68:69]
	v_or_b32_e32 v4, 0x1c0, v68
	v_mov_b32_e32 v5, v69
	v_or_b32_e32 v20, 0x380, v68
	v_mov_b32_e32 v21, v69
	v_or_b32_e32 v22, 0x540, v68
	v_add_co_u32 v2, s0, v0, v2
	v_add_co_ci_u32_e64 v3, s0, v1, v3, s0
	v_lshlrev_b64 v[4:5], 3, v[4:5]
	v_add_co_u32 v6, s0, 0x800, v2
	v_add_co_ci_u32_e64 v7, s0, 0, v3, s0
	v_add_co_u32 v8, s0, 0x1000, v2
	v_add_co_ci_u32_e64 v9, s0, 0, v3, s0
	v_add_co_u32 v4, s0, v0, v4
	v_lshlrev_b64 v[20:21], 3, v[20:21]
	v_add_co_ci_u32_e64 v5, s0, v1, v5, s0
	v_add_co_u32 v36, s0, 0x1800, v2
	v_mov_b32_e32 v23, v69
	v_add_co_ci_u32_e64 v37, s0, 0, v3, s0
	v_add_co_u32 v20, s0, v0, v20
	v_add_co_ci_u32_e64 v21, s0, v1, v21, s0
	v_lshlrev_b64 v[22:23], 3, v[22:23]
	v_add_co_u32 v38, s0, 0x2000, v2
	v_or_b32_e32 v24, 0x700, v68
	v_mov_b32_e32 v25, v69
	v_add_co_ci_u32_e64 v39, s0, 0, v3, s0
	v_add_co_u32 v40, s0, 0x2800, v2
	v_add_co_ci_u32_e64 v41, s0, 0, v3, s0
	v_lshlrev_b64 v[24:25], 3, v[24:25]
	v_add_co_u32 v22, s0, v0, v22
	v_add_co_ci_u32_e64 v23, s0, v1, v23, s0
	v_add_co_u32 v42, s0, 0x3000, v2
	v_add_co_ci_u32_e64 v43, s0, 0, v3, s0
	;; [unrolled: 2-line block ×3, first 2 shown]
	s_clause 0xb
	global_load_dwordx2 v[10:11], v[2:3], off offset:1792
	global_load_dwordx2 v[12:13], v[6:7], off offset:192
	;; [unrolled: 1-line block ×6, first 2 shown]
	global_load_dwordx2 v[4:5], v[4:5], off
	global_load_dwordx2 v[6:7], v[6:7], off offset:1984
	global_load_dwordx2 v[28:29], v[2:3], off
	global_load_dwordx2 v[30:31], v[2:3], off offset:448
	global_load_dwordx2 v[32:33], v[2:3], off offset:896
	;; [unrolled: 1-line block ×3, first 2 shown]
	v_add_co_u32 v2, s0, 0x3800, v2
	v_add_co_ci_u32_e64 v3, s0, 0, v3, s0
	s_clause 0x16
	global_load_dwordx2 v[44:45], v[8:9], off offset:1280
	global_load_dwordx2 v[8:9], v[8:9], off offset:1728
	;; [unrolled: 1-line block ×6, first 2 shown]
	global_load_dwordx2 v[20:21], v[20:21], off
	global_load_dwordx2 v[36:37], v[36:37], off offset:1920
	global_load_dwordx2 v[54:55], v[38:39], off offset:768
	;; [unrolled: 1-line block ×7, first 2 shown]
	global_load_dwordx2 v[22:23], v[22:23], off
	global_load_dwordx2 v[40:41], v[40:41], off offset:1856
	global_load_dwordx2 v[64:65], v[42:43], off offset:256
	;; [unrolled: 1-line block ×5, first 2 shown]
	global_load_dwordx2 v[24:25], v[24:25], off
	global_load_dwordx2 v[74:75], v[2:3], off offset:448
	global_load_dwordx2 v[2:3], v[2:3], off offset:896
	v_lshl_add_u32 v76, v68, 3, 0
	v_cmp_eq_u32_e64 s0, 55, v68
	v_add_nc_u32_e32 v77, 0x400, v76
	v_add_nc_u32_e32 v78, 0x800, v76
	;; [unrolled: 1-line block ×10, first 2 shown]
	s_waitcnt vmcnt(25)
	ds_write2_b64 v76, v[28:29], v[30:31] offset1:56
	s_waitcnt vmcnt(23)
	ds_write2_b64 v76, v[32:33], v[34:35] offset0:112 offset1:168
	ds_write2_b64 v77, v[10:11], v[12:13] offset0:96 offset1:152
	;; [unrolled: 1-line block ×5, first 2 shown]
	s_waitcnt vmcnt(21)
	ds_write2_b64 v79, v[44:45], v[8:9] offset0:160 offset1:216
	s_waitcnt vmcnt(19)
	ds_write2_b64 v80, v[46:47], v[48:49] offset0:16 offset1:72
	;; [unrolled: 2-line block ×10, first 2 shown]
	s_waitcnt vmcnt(1)
	ds_write2_b64 v86, v[24:25], v[74:75] offset1:56
	s_waitcnt vmcnt(0)
	ds_write_b64 v76, v[2:3] offset:15232
	s_and_saveexec_b32 s4, s0
	s_cbranch_execz .LBB0_12
; %bb.11:
	v_add_co_u32 v0, s0, 0x3800, v0
	v_add_co_ci_u32_e64 v1, s0, 0, v1, s0
	v_mov_b32_e32 v68, 55
	global_load_dwordx2 v[0:1], v[0:1], off offset:1344
	s_waitcnt vmcnt(0)
	ds_write_b64 v69, v[0:1] offset:15680
.LBB0_12:
	s_or_b32 exec_lo, exec_lo, s4
.LBB0_13:
	s_or_b32 exec_lo, exec_lo, s1
	v_lshlrev_b32_e32 v0, 3, v68
	s_waitcnt lgkmcnt(0)
	s_barrier
	buffer_gl0_inv
	s_add_u32 s1, s8, 0x3d20
	v_add_nc_u32_e32 v84, 0, v0
	v_sub_nc_u32_e32 v4, 0, v0
	s_addc_u32 s4, s9, 0
	s_mov_b32 s5, exec_lo
                                        ; implicit-def: $vgpr2_vgpr3
	ds_read_b32 v5, v84
	ds_read_b32 v6, v4 offset:15680
	s_waitcnt lgkmcnt(0)
	v_add_f32_e32 v0, v6, v5
	v_sub_f32_e32 v1, v5, v6
	v_cmpx_ne_u32_e32 0, v68
	s_xor_b32 s5, exec_lo, s5
	s_cbranch_execz .LBB0_15
; %bb.14:
	v_mov_b32_e32 v69, 0
	v_add_f32_e32 v7, v6, v5
	v_sub_f32_e32 v8, v5, v6
	v_lshlrev_b64 v[0:1], 3, v[68:69]
	v_add_co_u32 v0, s0, s1, v0
	v_add_co_ci_u32_e64 v1, s0, s4, v1, s0
	global_load_dwordx2 v[2:3], v[0:1], off
	ds_read_b32 v0, v4 offset:15684
	ds_read_b32 v1, v84 offset:4
	s_waitcnt lgkmcnt(0)
	v_add_f32_e32 v9, v0, v1
	v_sub_f32_e32 v0, v1, v0
	s_waitcnt vmcnt(0)
	v_fma_f32 v5, -v8, v3, v7
	v_fma_f32 v6, v9, v3, -v0
	v_fma_f32 v10, v8, v3, v7
	v_fma_f32 v1, v9, v3, v0
	v_fmac_f32_e32 v5, v2, v9
	v_fmac_f32_e32 v6, v8, v2
	v_fma_f32 v0, -v2, v9, v10
	v_fmac_f32_e32 v1, v8, v2
	v_mov_b32_e32 v2, v68
	v_mov_b32_e32 v3, v69
	ds_write_b64 v4, v[5:6] offset:15680
.LBB0_15:
	s_andn2_saveexec_b32 s0, s5
	s_cbranch_execz .LBB0_17
; %bb.16:
	v_mov_b32_e32 v7, 0
	ds_read_b64 v[2:3], v7 offset:7840
	s_waitcnt lgkmcnt(0)
	v_add_f32_e32 v5, v2, v2
	v_mul_f32_e32 v6, -2.0, v3
	v_mov_b32_e32 v2, 0
	v_mov_b32_e32 v3, 0
	ds_write_b64 v7, v[5:6] offset:7840
.LBB0_17:
	s_or_b32 exec_lo, exec_lo, s0
	v_lshlrev_b64 v[2:3], 3, v[2:3]
	v_or_b32_e32 v72, 0x1c0, v68
	v_mov_b32_e32 v73, 0
	v_or_b32_e32 v74, 0x380, v68
	v_add_co_u32 v2, s0, s1, v2
	v_add_co_ci_u32_e64 v3, s0, s4, v3, s0
	v_lshlrev_b64 v[21:22], 3, v[72:73]
	v_add_co_u32 v13, s0, 0x800, v2
	s_clause 0x3
	global_load_dwordx2 v[5:6], v[2:3], off offset:448
	global_load_dwordx2 v[7:8], v[2:3], off offset:896
	;; [unrolled: 1-line block ×4, first 2 shown]
	v_add_co_ci_u32_e64 v14, s0, 0, v3, s0
	v_mov_b32_e32 v75, v73
	s_clause 0x2
	global_load_dwordx2 v[15:16], v[13:14], off offset:192
	global_load_dwordx2 v[17:18], v[13:14], off offset:640
	;; [unrolled: 1-line block ×3, first 2 shown]
	ds_write_b64 v84, v[0:1]
	v_add_co_u32 v0, s0, s1, v21
	v_add_co_ci_u32_e64 v1, s0, s4, v22, s0
	ds_read_b64 v[21:22], v84 offset:448
	ds_read_b64 v[23:24], v4 offset:15232
	global_load_dwordx2 v[25:26], v[0:1], off
	s_waitcnt lgkmcnt(0)
	v_add_f32_e32 v0, v21, v23
	v_add_f32_e32 v27, v24, v22
	v_sub_f32_e32 v23, v21, v23
	v_sub_f32_e32 v22, v22, v24
	s_waitcnt vmcnt(7)
	v_fma_f32 v24, v23, v6, v0
	v_fma_f32 v1, v27, v6, v22
	v_fma_f32 v21, -v23, v6, v0
	v_fma_f32 v22, v27, v6, -v22
	v_fma_f32 v0, -v5, v27, v24
	v_fmac_f32_e32 v1, v23, v5
	v_fmac_f32_e32 v21, v5, v27
	;; [unrolled: 1-line block ×3, first 2 shown]
	ds_write_b64 v84, v[0:1] offset:448
	ds_write_b64 v4, v[21:22] offset:15232
	ds_read_b64 v[0:1], v84 offset:896
	ds_read_b64 v[5:6], v4 offset:14784
	global_load_dwordx2 v[13:14], v[13:14], off offset:1984
	s_waitcnt lgkmcnt(0)
	v_add_f32_e32 v21, v0, v5
	v_add_f32_e32 v22, v6, v1
	v_sub_f32_e32 v23, v0, v5
	v_sub_f32_e32 v0, v1, v6
	s_waitcnt vmcnt(7)
	v_fma_f32 v24, v23, v8, v21
	v_fma_f32 v1, v22, v8, v0
	v_fma_f32 v5, -v23, v8, v21
	v_fma_f32 v6, v22, v8, -v0
	v_fma_f32 v0, -v7, v22, v24
	v_fmac_f32_e32 v1, v23, v7
	v_fmac_f32_e32 v5, v7, v22
	;; [unrolled: 1-line block ×3, first 2 shown]
	v_add_co_u32 v7, s0, 0x1000, v2
	v_add_co_ci_u32_e64 v8, s0, 0, v3, s0
	ds_write_b64 v84, v[0:1] offset:896
	ds_write_b64 v4, v[5:6] offset:14784
	ds_read_b64 v[0:1], v84 offset:1344
	ds_read_b64 v[5:6], v4 offset:14336
	global_load_dwordx2 v[21:22], v[7:8], off offset:384
	s_waitcnt lgkmcnt(0)
	v_add_f32_e32 v23, v0, v5
	v_add_f32_e32 v24, v6, v1
	v_sub_f32_e32 v27, v0, v5
	v_sub_f32_e32 v0, v1, v6
	s_waitcnt vmcnt(7)
	v_fma_f32 v28, v27, v10, v23
	v_fma_f32 v1, v24, v10, v0
	v_fma_f32 v5, -v27, v10, v23
	v_fma_f32 v6, v24, v10, -v0
	v_fma_f32 v0, -v9, v24, v28
	v_fmac_f32_e32 v1, v27, v9
	v_fmac_f32_e32 v5, v9, v24
	v_fmac_f32_e32 v6, v27, v9
	ds_write_b64 v84, v[0:1] offset:1344
	ds_write_b64 v4, v[5:6] offset:14336
	ds_read_b64 v[0:1], v84 offset:1792
	ds_read_b64 v[5:6], v4 offset:13888
	global_load_dwordx2 v[9:10], v[7:8], off offset:832
	s_waitcnt lgkmcnt(0)
	v_add_f32_e32 v23, v0, v5
	v_add_f32_e32 v24, v6, v1
	v_sub_f32_e32 v27, v0, v5
	v_sub_f32_e32 v0, v1, v6
	s_waitcnt vmcnt(7)
	v_fma_f32 v28, v27, v12, v23
	v_fma_f32 v1, v24, v12, v0
	v_fma_f32 v5, -v27, v12, v23
	v_fma_f32 v6, v24, v12, -v0
	v_fma_f32 v0, -v11, v24, v28
	v_fmac_f32_e32 v1, v27, v11
	v_fmac_f32_e32 v5, v11, v24
	v_fmac_f32_e32 v6, v27, v11
	;; [unrolled: 19-line block ×4, first 2 shown]
	v_add_co_u32 v0, s0, 0x1800, v2
	v_add_co_ci_u32_e64 v1, s0, 0, v3, s0
	ds_write_b64 v84, v[5:6] offset:2688
	ds_write_b64 v4, v[15:16] offset:12992
	ds_read_b64 v[2:3], v84 offset:3136
	ds_read_b64 v[5:6], v4 offset:12544
	global_load_dwordx2 v[15:16], v[0:1], off offset:128
	s_waitcnt lgkmcnt(0)
	v_add_f32_e32 v17, v2, v5
	v_add_f32_e32 v18, v6, v3
	v_sub_f32_e32 v23, v2, v5
	v_sub_f32_e32 v2, v3, v6
	s_waitcnt vmcnt(7)
	v_fma_f32 v24, v23, v20, v17
	v_fma_f32 v3, v18, v20, v2
	v_fma_f32 v5, -v23, v20, v17
	v_fma_f32 v6, v18, v20, -v2
	v_fma_f32 v2, -v19, v18, v24
	v_fmac_f32_e32 v3, v23, v19
	v_fmac_f32_e32 v5, v19, v18
	;; [unrolled: 1-line block ×3, first 2 shown]
	ds_write_b64 v84, v[2:3] offset:3136
	ds_write_b64 v4, v[5:6] offset:12544
	ds_read_b64 v[2:3], v84 offset:3584
	ds_read_b64 v[5:6], v4 offset:12096
	global_load_dwordx2 v[17:18], v[0:1], off offset:576
	s_waitcnt lgkmcnt(0)
	v_add_f32_e32 v19, v2, v5
	v_sub_f32_e32 v24, v2, v5
	v_add_f32_e32 v23, v6, v3
	v_sub_f32_e32 v2, v3, v6
	s_waitcnt vmcnt(7)
	v_fma_f32 v27, v24, v26, v19
	v_fma_f32 v5, -v24, v26, v19
	v_lshlrev_b64 v[19:20], 3, v[74:75]
	v_fma_f32 v3, v23, v26, v2
	v_fma_f32 v6, v23, v26, -v2
	v_fma_f32 v2, -v25, v23, v27
	v_fmac_f32_e32 v5, v25, v23
	v_add_co_u32 v19, s0, s1, v19
	v_fmac_f32_e32 v3, v24, v25
	v_fmac_f32_e32 v6, v24, v25
	v_add_co_ci_u32_e64 v20, s0, s4, v20, s0
	ds_write_b64 v84, v[2:3] offset:3584
	ds_write_b64 v4, v[5:6] offset:12096
	ds_read_b64 v[2:3], v84 offset:4032
	ds_read_b64 v[5:6], v4 offset:11648
	global_load_dwordx2 v[19:20], v[19:20], off
	v_cmp_gt_u32_e64 s0, 28, v68
	s_waitcnt lgkmcnt(0)
	v_add_f32_e32 v23, v2, v5
	v_add_f32_e32 v24, v6, v3
	v_sub_f32_e32 v25, v2, v5
	v_sub_f32_e32 v2, v3, v6
	s_waitcnt vmcnt(7)
	v_fma_f32 v26, v25, v14, v23
	v_fma_f32 v3, v24, v14, v2
	v_fma_f32 v5, -v25, v14, v23
	v_fma_f32 v6, v24, v14, -v2
	v_fma_f32 v2, -v13, v24, v26
	v_fmac_f32_e32 v3, v25, v13
	v_fmac_f32_e32 v5, v13, v24
	v_fmac_f32_e32 v6, v25, v13
	ds_write_b64 v84, v[2:3] offset:4032
	ds_write_b64 v4, v[5:6] offset:11648
	ds_read_b64 v[2:3], v84 offset:4480
	ds_read_b64 v[5:6], v4 offset:11200
	s_waitcnt lgkmcnt(0)
	v_add_f32_e32 v13, v2, v5
	v_add_f32_e32 v14, v6, v3
	v_sub_f32_e32 v23, v2, v5
	v_sub_f32_e32 v2, v3, v6
	s_waitcnt vmcnt(6)
	v_fma_f32 v24, v23, v22, v13
	v_fma_f32 v3, v14, v22, v2
	v_fma_f32 v5, -v23, v22, v13
	v_fma_f32 v6, v14, v22, -v2
	v_fma_f32 v2, -v21, v14, v24
	v_fmac_f32_e32 v3, v23, v21
	v_fmac_f32_e32 v5, v21, v14
	v_fmac_f32_e32 v6, v23, v21
	ds_write_b64 v84, v[2:3] offset:4480
	ds_write_b64 v4, v[5:6] offset:11200
	ds_read_b64 v[2:3], v84 offset:4928
	ds_read_b64 v[5:6], v4 offset:10752
	;; [unrolled: 18-line block ×7, first 2 shown]
	s_waitcnt lgkmcnt(0)
	v_add_f32_e32 v7, v2, v5
	v_add_f32_e32 v8, v6, v3
	v_sub_f32_e32 v9, v2, v5
	v_sub_f32_e32 v2, v3, v6
	s_waitcnt vmcnt(0)
	v_fma_f32 v10, v9, v20, v7
	v_fma_f32 v3, v8, v20, v2
	v_fma_f32 v5, -v9, v20, v7
	v_fma_f32 v6, v8, v20, -v2
	v_fma_f32 v2, -v19, v8, v10
	v_fmac_f32_e32 v3, v9, v19
	v_fmac_f32_e32 v5, v19, v8
	;; [unrolled: 1-line block ×3, first 2 shown]
	ds_write_b64 v84, v[2:3] offset:7168
	ds_write_b64 v4, v[5:6] offset:8512
	s_and_saveexec_b32 s1, s0
	s_cbranch_execz .LBB0_19
; %bb.18:
	global_load_dwordx2 v[0:1], v[0:1], off offset:1472
	ds_read_b64 v[2:3], v84 offset:7616
	ds_read_b64 v[5:6], v4 offset:8064
	s_waitcnt lgkmcnt(0)
	v_add_f32_e32 v7, v2, v5
	v_add_f32_e32 v8, v6, v3
	v_sub_f32_e32 v9, v2, v5
	v_sub_f32_e32 v3, v3, v6
	s_waitcnt vmcnt(0)
	v_fma_f32 v10, v9, v1, v7
	v_fma_f32 v2, v8, v1, v3
	v_fma_f32 v5, -v9, v1, v7
	v_fma_f32 v6, v8, v1, -v3
	v_fma_f32 v1, -v0, v8, v10
	v_fmac_f32_e32 v2, v9, v0
	v_fmac_f32_e32 v5, v0, v8
	;; [unrolled: 1-line block ×3, first 2 shown]
	ds_write_b64 v84, v[1:2] offset:7616
	ds_write_b64 v4, v[5:6] offset:8064
.LBB0_19:
	s_or_b32 exec_lo, exec_lo, s1
	v_add_nc_u32_e32 v28, 0x1c00, v84
	v_add_nc_u32_e32 v78, 0x800, v84
	;; [unrolled: 1-line block ×3, first 2 shown]
	s_waitcnt lgkmcnt(0)
	s_barrier
	buffer_gl0_inv
	s_barrier
	buffer_gl0_inv
	ds_read2_b64 v[4:7], v84 offset1:56
	ds_read2_b64 v[8:11], v28 offset0:84 offset1:140
	ds_read2_b64 v[0:3], v78 offset0:192 offset1:234
	;; [unrolled: 1-line block ×3, first 2 shown]
	v_add_nc_u32_e32 v79, 0x1000, v84
	v_add_nc_u32_e32 v81, 0x2c00, v84
	;; [unrolled: 1-line block ×3, first 2 shown]
	ds_read2_b64 v[16:19], v84 offset0:112 offset1:168
	v_add_nc_u32_e32 v89, 0x3000, v84
	ds_read2_b64 v[20:23], v79 offset0:34 offset1:90
	ds_read2_b64 v[24:27], v81 offset0:118 offset1:174
	;; [unrolled: 1-line block ×3, first 2 shown]
	v_add_nc_u32_e32 v37, 0x3400, v84
	v_add_nc_u32_e32 v92, 0x400, v84
	;; [unrolled: 1-line block ×4, first 2 shown]
	v_lshl_add_u32 v87, v68, 5, 0
	ds_read2_b64 v[37:40], v37 offset0:86 offset1:142
	v_add_nc_u32_e32 v88, 0x118, v68
	s_mov_b32 s4, exec_lo
	s_waitcnt lgkmcnt(7)
	v_sub_f32_e32 v8, v4, v8
	v_sub_f32_e32 v9, v5, v9
	s_waitcnt lgkmcnt(5)
	v_sub_f32_e32 v33, v2, v14
	v_sub_f32_e32 v14, v3, v15
	;; [unrolled: 1-line block ×3, first 2 shown]
	v_fma_f32 v4, v4, 2.0, -v8
	v_fma_f32 v5, v5, 2.0, -v9
	;; [unrolled: 1-line block ×4, first 2 shown]
	s_waitcnt lgkmcnt(2)
	v_sub_f32_e32 v25, v21, v25
	v_sub_f32_e32 v15, v9, v33
	ds_read2_b64 v[33:36], v79 offset0:146 offset1:202
	v_sub_f32_e32 v65, v4, v2
	v_sub_f32_e32 v66, v5, v3
	;; [unrolled: 1-line block ×4, first 2 shown]
	v_fma_f32 v77, v7, 2.0, -v69
	v_fma_f32 v7, v21, 2.0, -v25
	;; [unrolled: 1-line block ×4, first 2 shown]
	ds_read2_b64 v[41:44], v89 offset0:102 offset1:158
	ds_read2_b64 v[45:48], v92 offset0:96 offset1:152
	;; [unrolled: 1-line block ×7, first 2 shown]
	v_fma_f32 v73, v6, 2.0, -v67
	v_fma_f32 v6, v20, 2.0, -v24
	v_sub_f32_e32 v7, v77, v7
	v_add_f32_e32 v14, v8, v14
	v_sub_f32_e32 v26, v22, v26
	v_sub_f32_e32 v27, v23, v27
	s_waitcnt lgkmcnt(9)
	v_sub_f32_e32 v29, v16, v29
	v_sub_f32_e32 v30, v17, v30
	;; [unrolled: 1-line block ×3, first 2 shown]
	v_add_f32_e32 v20, v67, v25
	v_sub_f32_e32 v21, v69, v24
	v_fma_f32 v25, v77, 2.0, -v7
	v_add_nc_u32_e32 v77, 56, v68
	v_fma_f32 v75, v8, 2.0, -v14
	v_fma_f32 v76, v9, 2.0, -v15
	;; [unrolled: 1-line block ×9, first 2 shown]
	v_lshl_add_u32 v67, v77, 5, 0
	ds_read2_b64 v[8:11], v93 offset0:70 offset1:126
	s_waitcnt lgkmcnt(0)
	s_barrier
	buffer_gl0_inv
	ds_write2_b64 v87, v[82:83], v[75:76] offset1:1
	ds_write2_b64 v87, v[65:66], v[14:15] offset0:2 offset1:3
	ds_write2_b64 v67, v[24:25], v[85:86] offset1:1
	v_sub_f32_e32 v14, v16, v22
	v_sub_f32_e32 v15, v17, v23
	;; [unrolled: 1-line block ×6, first 2 shown]
	ds_write2_b64 v67, v[6:7], v[20:21] offset0:2 offset1:3
	v_add_f32_e32 v6, v29, v27
	v_sub_f32_e32 v7, v30, v26
	v_add_nc_u32_e32 v69, 0x70, v68
	v_fma_f32 v26, v18, 2.0, -v24
	v_fma_f32 v27, v19, 2.0, -v25
	;; [unrolled: 1-line block ×8, first 2 shown]
	v_lshl_add_u32 v29, v69, 5, 0
	v_sub_f32_e32 v20, v26, v20
	v_sub_f32_e32 v21, v27, v21
	v_add_f32_e32 v22, v24, v22
	v_sub_f32_e32 v23, v25, v23
	ds_write2_b64 v29, v[16:17], v[18:19] offset1:1
	v_fma_f32 v16, v26, 2.0, -v20
	v_fma_f32 v17, v27, 2.0, -v21
	;; [unrolled: 1-line block ×4, first 2 shown]
	v_sub_f32_e32 v24, v35, v43
	v_sub_f32_e32 v25, v36, v44
	;; [unrolled: 1-line block ×4, first 2 shown]
	v_add_nc_u32_e32 v85, 0xa8, v68
	v_fma_f32 v31, v35, 2.0, -v24
	v_fma_f32 v32, v36, 2.0, -v25
	;; [unrolled: 1-line block ×4, first 2 shown]
	v_lshl_add_u32 v30, v85, 5, 0
	ds_write2_b64 v29, v[14:15], v[6:7] offset0:2 offset1:3
	ds_write2_b64 v30, v[16:17], v[18:19] offset1:1
	ds_write2_b64 v30, v[20:21], v[22:23] offset0:2 offset1:3
	v_sub_f32_e32 v6, v33, v31
	v_sub_f32_e32 v7, v34, v32
	v_add_f32_e32 v14, v26, v25
	v_sub_f32_e32 v15, v27, v24
	v_add_nc_u32_e32 v86, 0xe0, v68
	v_fma_f32 v16, v33, 2.0, -v6
	v_fma_f32 v17, v34, 2.0, -v7
	;; [unrolled: 1-line block ×4, first 2 shown]
	v_lshl_add_u32 v20, v86, 5, 0
	v_sub_f32_e32 v21, v47, v51
	v_sub_f32_e32 v22, v48, v52
	v_sub_f32_e32 v23, v53, v37
	v_sub_f32_e32 v24, v54, v38
	ds_write2_b64 v20, v[16:17], v[18:19] offset1:1
	v_fma_f32 v16, v47, 2.0, -v21
	v_fma_f32 v17, v48, 2.0, -v22
	;; [unrolled: 1-line block ×4, first 2 shown]
	ds_write2_b64 v20, v[6:7], v[14:15] offset0:2 offset1:3
	v_sub_f32_e32 v7, v55, v39
	v_sub_f32_e32 v26, v57, v61
	;; [unrolled: 1-line block ×4, first 2 shown]
	v_add_f32_e32 v18, v21, v24
	v_fma_f32 v6, v55, 2.0, -v7
	v_sub_f32_e32 v19, v22, v23
	v_fma_f32 v24, v57, 2.0, -v26
	v_sub_f32_e32 v33, v59, v63
	v_sub_f32_e32 v32, v2, v8
	;; [unrolled: 1-line block ×4, first 2 shown]
	v_fma_f32 v20, v21, 2.0, -v18
	v_fma_f32 v21, v22, 2.0, -v19
	v_sub_f32_e32 v22, v24, v6
	v_fma_f32 v31, v59, 2.0, -v33
	v_sub_f32_e32 v36, v3, v9
	;; [unrolled: 2-line block ×3, first 2 shown]
	v_fma_f32 v27, v56, 2.0, -v25
	v_fma_f32 v30, v58, 2.0, -v29
	v_sub_f32_e32 v6, v1, v13
	v_fma_f32 v8, v24, 2.0, -v22
	v_sub_f32_e32 v13, v29, v7
	v_sub_f32_e32 v24, v31, v9
	v_fma_f32 v35, v60, 2.0, -v34
	v_fma_f32 v3, v3, 2.0, -v36
	v_sub_f32_e32 v23, v30, v27
	v_fma_f32 v27, v29, 2.0, -v13
	v_fma_f32 v29, v31, 2.0, -v24
	v_add_f32_e32 v31, v33, v36
	v_sub_f32_e32 v2, v0, v12
	v_add_f32_e32 v12, v26, v25
	v_sub_f32_e32 v25, v35, v3
	v_sub_f32_e32 v7, v5, v11
	;; [unrolled: 1-line block ×3, first 2 shown]
	v_add_nc_u32_e32 v87, 0x150, v68
	v_sub_f32_e32 v32, v34, v32
	v_add_nc_u32_e32 v73, 0x188, v68
	v_fma_f32 v16, v16, 2.0, -v14
	v_fma_f32 v17, v17, 2.0, -v15
	v_fma_f32 v10, v33, 2.0, -v31
	v_lshl_add_u32 v33, v88, 5, 0
	v_add_f32_e32 v75, v2, v7
	v_sub_f32_e32 v76, v6, v3
	v_fma_f32 v9, v30, 2.0, -v23
	v_fma_f32 v26, v26, 2.0, -v12
	;; [unrolled: 1-line block ×3, first 2 shown]
	v_lshl_add_u32 v34, v87, 5, 0
	v_fma_f32 v30, v35, 2.0, -v25
	ds_write2_b64 v33, v[16:17], v[20:21] offset1:1
	v_lshl_add_u32 v16, v73, 5, 0
	ds_write2_b64 v33, v[14:15], v[18:19] offset0:2 offset1:3
	ds_write2_b64 v34, v[8:9], v[26:27] offset1:1
	ds_write2_b64 v34, v[22:23], v[12:13] offset0:2 offset1:3
	ds_write2_b64 v16, v[29:30], v[10:11] offset1:1
	ds_write2_b64 v16, v[24:25], v[31:32] offset0:2 offset1:3
	v_cmpx_gt_u32_e32 42, v68
	s_cbranch_execz .LBB0_21
; %bb.20:
	v_fma_f32 v8, v1, 2.0, -v6
	v_fma_f32 v1, v5, 2.0, -v7
	;; [unrolled: 1-line block ×6, first 2 shown]
	v_sub_f32_e32 v1, v8, v1
	v_lshl_add_u32 v6, v72, 5, 0
	v_sub_f32_e32 v0, v7, v0
	v_fma_f32 v5, v8, 2.0, -v1
	v_fma_f32 v4, v7, 2.0, -v0
	ds_write2_b64 v6, v[4:5], v[2:3] offset1:1
	ds_write2_b64 v6, v[0:1], v[75:76] offset0:2 offset1:3
.LBB0_21:
	s_or_b32 exec_lo, exec_lo, s4
	v_and_b32_e32 v95, 3, v68
	s_waitcnt lgkmcnt(0)
	s_barrier
	buffer_gl0_inv
	v_add_nc_u32_e32 v94, 0x2400, v84
	v_mul_u32_u24_e32 v0, 6, v95
	v_lshlrev_b32_e32 v0, 3, v0
	s_clause 0x2
	global_load_dwordx4 v[44:47], v0, s[8:9]
	global_load_dwordx4 v[12:15], v0, s[8:9] offset:16
	global_load_dwordx4 v[4:7], v0, s[8:9] offset:32
	ds_read2_b64 v[0:3], v92 offset0:96 offset1:152
	ds_read2_b64 v[64:67], v79 offset0:48 offset1:104
	ds_read2_b64 v[60:63], v78 offset0:80 offset1:136
	ds_read2_b64 v[48:51], v90 offset0:16 offset1:72
	ds_read2_b64 v[40:43], v91 offset0:96 offset1:152
	ds_read2_b64 v[24:27], v80 offset0:64 offset1:120
	ds_read2_b64 v[20:23], v89 offset0:144 offset1:200
	ds_read2_b64 v[36:39], v90 offset0:128 offset1:184
	ds_read2_b64 v[56:59], v79 offset0:160 offset1:216
	ds_read2_b64 v[16:19], v80 offset0:176 offset1:232
	ds_read2_b64 v[8:11], v93 offset1:56
	ds_read2_b64 v[52:55], v78 offset0:192 offset1:248
	ds_read2_b64 v[32:35], v28 offset0:112 offset1:168
	ds_read2_b64 v[99:102], v89 offset0:32 offset1:88
	ds_read_b64 v[111:112], v84 offset:15232
	ds_read2_b64 v[28:31], v84 offset1:56
	ds_read2_b64 v[103:106], v84 offset0:112 offset1:168
	ds_read2_b64 v[107:110], v94 offset0:80 offset1:136
	s_waitcnt vmcnt(0) lgkmcnt(0)
	s_barrier
	buffer_gl0_inv
	v_mul_f32_e32 v114, v65, v47
	v_mul_f32_e32 v115, v64, v47
	;; [unrolled: 1-line block ×40, first 2 shown]
	v_fmac_f32_e32 v114, v64, v46
	v_fma_f32 v64, v65, v46, -v115
	v_fmac_f32_e32 v116, v66, v46
	v_fma_f32 v65, v67, v46, -v117
	v_mul_f32_e32 v66, v27, v5
	v_mul_f32_e32 v67, v26, v5
	v_mul_f32_e32 v115, v21, v7
	v_mul_f32_e32 v117, v20, v7
	v_fmac_f32_e32 v118, v60, v44
	v_fma_f32 v60, v61, v44, -v119
	v_fmac_f32_e32 v120, v62, v44
	v_fma_f32 v61, v63, v44, -v121
	v_mul_f32_e32 v62, v17, v5
	v_mul_f32_e32 v63, v23, v7
	v_mul_f32_e32 v119, v22, v7
	v_mul_f32_e32 v121, v16, v5
	v_fmac_f32_e32 v122, v56, v46
	v_fma_f32 v57, v57, v46, -v123
	v_fmac_f32_e32 v83, v58, v46
	v_fma_f32 v56, v59, v46, -v124
	v_mul_f32_e32 v58, v19, v5
	v_mul_f32_e32 v59, v18, v5
	v_mul_f32_e32 v123, v9, v7
	v_mul_f32_e32 v124, v8, v7
	v_fmac_f32_e32 v96, v52, v44
	v_fma_f32 v52, v53, v44, -v125
	v_fmac_f32_e32 v82, v54, v44
	v_fma_f32 v15, v55, v44, -v126
	v_mul_f32_e32 v53, v100, v5
	v_mul_f32_e32 v54, v11, v7
	v_mul_f32_e32 v55, v10, v7
	v_mul_f32_e32 v125, v99, v5
	v_fmac_f32_e32 v113, v2, v44
	v_fma_f32 v44, v3, v44, -v127
	v_fmac_f32_e32 v45, v48, v46
	v_fma_f32 v2, v49, v46, -v129
	v_mul_f32_e32 v3, v102, v5
	v_mul_f32_e32 v46, v101, v5
	v_mul_f32_e32 v5, v112, v7
	v_mul_f32_e32 v48, v111, v7
	v_fmac_f32_e32 v128, v50, v12
	v_fma_f32 v49, v51, v12, -v130
	v_fmac_f32_e32 v131, v40, v14
	v_fma_f32 v40, v41, v14, -v132
	;; [unrolled: 2-line block ×20, first 2 shown]
	v_add_f32_e32 v19, v113, v115
	v_add_f32_e32 v22, v44, v20
	;; [unrolled: 1-line block ×26, first 2 shown]
	v_sub_f32_e32 v51, v113, v115
	v_sub_f32_e32 v20, v44, v20
	;; [unrolled: 1-line block ×18, first 2 shown]
	v_add_f32_e32 v38, v23, v19
	v_add_f32_e32 v39, v24, v22
	;; [unrolled: 1-line block ×14, first 2 shown]
	v_sub_f32_e32 v118, v23, v19
	v_sub_f32_e32 v119, v25, v23
	;; [unrolled: 1-line block ×4, first 2 shown]
	v_add_f32_e32 v23, v59, v44
	v_sub_f32_e32 v121, v59, v44
	v_sub_f32_e32 v44, v44, v51
	v_add_f32_e32 v122, v40, v14
	v_sub_f32_e32 v123, v40, v14
	v_sub_f32_e32 v14, v14, v20
	;; [unrolled: 1-line block ×7, first 2 shown]
	v_add_f32_e32 v126, v62, v60
	v_sub_f32_e32 v127, v62, v60
	v_sub_f32_e32 v60, v60, v49
	v_add_f32_e32 v128, v37, v16
	v_sub_f32_e32 v129, v37, v16
	v_sub_f32_e32 v130, v16, v21
	;; [unrolled: 1-line block ×9, first 2 shown]
	v_add_f32_e32 v48, v64, v18
	v_sub_f32_e32 v50, v64, v18
	v_sub_f32_e32 v134, v18, v63
	v_add_f32_e32 v18, v65, v17
	v_add_f32_e32 v25, v25, v38
	;; [unrolled: 1-line block ×5, first 2 shown]
	v_sub_f32_e32 v59, v51, v59
	v_sub_f32_e32 v40, v20, v40
	;; [unrolled: 1-line block ×6, first 2 shown]
	v_add_f32_e32 v39, v99, v58
	v_add_f32_e32 v41, v101, v66
	;; [unrolled: 1-line block ×7, first 2 shown]
	v_mul_f32_e32 v58, 0x3f08b237, v121
	v_mul_f32_e32 v66, 0x3f08b237, v123
	;; [unrolled: 1-line block ×8, first 2 shown]
	v_add_f32_e32 v49, v126, v49
	v_add_f32_e32 v126, v128, v21
	v_mul_f32_e32 v127, 0x3f08b237, v127
	v_mul_f32_e32 v128, 0x3f08b237, v129
	;; [unrolled: 1-line block ×7, first 2 shown]
	v_add_f32_e32 v144, v18, v61
	v_add_f32_e32 v16, v25, v28
	;; [unrolled: 1-line block ×6, first 2 shown]
	v_mul_f32_e32 v139, 0x3d64c772, v43
	v_add_f32_e32 v143, v48, v63
	v_mul_f32_e32 v48, 0x3d64c772, v131
	v_add_f32_e32 v20, v103, v39
	v_add_f32_e32 v21, v104, v41
	v_fma_f32 v28, 0x3f3bfb3b, v118, -v116
	v_fma_f32 v29, 0x3f3bfb3b, v120, -v121
	v_fma_f32 v30, 0xbf5ff5aa, v44, -v58
	v_fma_f32 v14, 0xbf5ff5aa, v14, -v66
	v_fma_f32 v31, 0x3eae86e6, v59, -v122
	v_fma_f32 v44, 0x3eae86e6, v40, -v123
	v_fma_f32 v103, 0xbf3bfb3b, v118, -v137
	v_fma_f32 v104, 0xbf3bfb3b, v120, -v138
	v_fmamk_f32 v58, v59, 0xbeae86e6, v58
	v_fmamk_f32 v40, v40, 0xbeae86e6, v66
	;; [unrolled: 1-line block ×4, first 2 shown]
	v_fma_f32 v66, 0x3f3bfb3b, v124, -v129
	v_fma_f32 v60, 0xbf5ff5aa, v60, -v127
	;; [unrolled: 1-line block ×6, first 2 shown]
	v_fmamk_f32 v121, v42, 0xbeae86e6, v127
	v_fmamk_f32 v27, v43, 0x3d64c772, v27
	;; [unrolled: 1-line block ×6, first 2 shown]
	v_mul_f32_e32 v145, 0x3f08b237, v50
	v_mul_f32_e32 v50, 0x3d64c772, v133
	v_add_f32_e32 v22, v105, v46
	v_add_f32_e32 v23, v106, v113
	v_fma_f32 v105, 0x3f3bfb3b, v125, -v139
	v_fma_f32 v106, 0xbf5ff5aa, v130, -v128
	v_fmamk_f32 v122, v37, 0xbeae86e6, v128
	v_fmamk_f32 v33, v33, 0x3d64c772, v142
	v_fma_f32 v37, 0x3f3bfb3b, v62, -v48
	v_fmac_f32_e32 v30, 0xbee1c552, v51
	v_fmac_f32_e32 v14, 0xbee1c552, v57
	;; [unrolled: 1-line block ×9, first 2 shown]
	v_fmamk_f32 v125, v39, 0xbf955555, v20
	v_add_f32_e32 v28, v28, v25
	v_add_f32_e32 v43, v59, v25
	;; [unrolled: 1-line block ×6, first 2 shown]
	v_fma_f32 v42, 0x3f3bfb3b, v132, -v50
	v_fmac_f32_e32 v44, 0xbee1c552, v57
	v_fmac_f32_e32 v106, 0xbee1c552, v126
	;; [unrolled: 1-line block ×3, first 2 shown]
	v_fmamk_f32 v126, v41, 0xbf955555, v21
	v_add_f32_e32 v29, v29, v26
	v_add_f32_e32 v39, v103, v25
	;; [unrolled: 1-line block ×7, first 2 shown]
	v_sub_f32_e32 v24, v28, v14
	v_add_f32_e32 v26, v14, v28
	v_add_f32_e32 v33, v40, v43
	v_sub_f32_e32 v34, v48, v58
	v_sub_f32_e32 v37, v43, v40
	v_add_f32_e32 v38, v58, v48
	v_add_f32_e32 v43, v118, v51
	v_sub_f32_e32 v48, v51, v118
	v_sub_f32_e32 v51, v66, v121
	v_add_f32_e32 v58, v121, v66
	v_sub_f32_e32 v14, v67, v99
	v_sub_f32_e32 v66, v100, v101
	v_mul_f32_e32 v135, 0x3f08b237, v135
	v_sub_f32_e32 v63, v63, v64
	v_sub_f32_e32 v64, v61, v65
	v_mul_f32_e32 v14, 0x3f4a47b2, v14
	v_mul_f32_e32 v65, 0x3f4a47b2, v66
	;; [unrolled: 1-line block ×4, first 2 shown]
	v_fma_f32 v123, 0xbf5ff5aa, v134, -v145
	v_fma_f32 v124, 0xbf5ff5aa, v136, -v135
	v_fma_f32 v99, 0xbf3bfb3b, v62, -v14
	v_fma_f32 v100, 0xbf3bfb3b, v132, -v65
	v_fma_f32 v66, 0x3eae86e6, v64, -v66
	v_fma_f32 v67, 0x3eae86e6, v63, -v67
	v_fmac_f32_e32 v123, 0xbee1c552, v143
	v_fmac_f32_e32 v124, 0xbee1c552, v144
	v_add_f32_e32 v104, v42, v126
	v_add_f32_e32 v99, v99, v125
	;; [unrolled: 1-line block ×3, first 2 shown]
	v_fmac_f32_e32 v66, 0xbee1c552, v144
	v_fmac_f32_e32 v67, 0xbee1c552, v143
	v_fmamk_f32 v65, v133, 0x3d64c772, v65
	v_add_f32_e32 v25, v30, v29
	v_sub_f32_e32 v27, v29, v30
	v_add_f32_e32 v28, v44, v39
	v_sub_f32_e32 v29, v41, v31
	v_sub_f32_e32 v30, v39, v44
	v_add_f32_e32 v31, v31, v41
	v_sub_f32_e32 v39, v49, v106
	v_add_f32_e32 v40, v60, v50
	v_add_f32_e32 v41, v106, v49
	v_sub_f32_e32 v42, v50, v60
	v_sub_f32_e32 v44, v57, v116
	v_add_f32_e32 v49, v116, v57
	v_add_f32_e32 v50, v122, v59
	v_sub_f32_e32 v57, v59, v122
	;; [unrolled: 4-line block ×3, first 2 shown]
	v_fmamk_f32 v101, v64, 0xbeae86e6, v135
	v_fmamk_f32 v103, v63, 0xbeae86e6, v145
	v_add_f32_e32 v63, v66, v99
	v_add_f32_e32 v104, v65, v126
	v_sub_f32_e32 v64, v100, v67
	v_sub_f32_e32 v65, v99, v66
	v_add_f32_e32 v66, v67, v100
	v_sub_f32_e32 v67, v52, v35
	v_sub_f32_e32 v35, v83, v53
	;; [unrolled: 1-line block ×9, first 2 shown]
	v_add_f32_e32 v36, v55, v35
	v_sub_f32_e32 v53, v55, v35
	v_mul_f32_e32 v105, 0x3d64c772, v83
	v_fmamk_f32 v14, v131, 0x3d64c772, v14
	v_sub_f32_e32 v96, v107, v9
	v_sub_f32_e32 v98, v35, v54
	v_add_f32_e32 v35, v32, v52
	v_sub_f32_e32 v102, v32, v52
	v_sub_f32_e32 v106, v52, v67
	v_add_f32_e32 v107, v36, v54
	v_fma_f32 v36, 0x3f3bfb3b, v56, -v105
	v_mul_f32_e32 v52, 0x3d64c772, v97
	v_mul_f32_e32 v105, 0x3f08b237, v53
	v_sub_f32_e32 v8, v8, v10
	v_sub_f32_e32 v9, v9, v11
	v_add_f32_e32 v14, v14, v125
	v_fmac_f32_e32 v101, 0xbee1c552, v144
	v_fmamk_f32 v113, v113, 0xbf955555, v23
	v_fma_f32 v52, 0x3f3bfb3b, v96, -v52
	v_fma_f32 v119, 0xbf5ff5aa, v98, -v105
	v_sub_f32_e32 v10, v54, v55
	v_sub_f32_e32 v11, v67, v32
	v_mul_f32_e32 v32, 0x3f4a47b2, v8
	v_mul_f32_e32 v54, 0x3f4a47b2, v9
	v_add_f32_e32 v99, v101, v14
	v_fmamk_f32 v46, v46, 0xbf955555, v22
	v_mul_f32_e32 v102, 0x3f08b237, v102
	v_add_f32_e32 v116, v35, v67
	v_sub_f32_e32 v35, v14, v101
	v_add_f32_e32 v14, v52, v113
	v_fmac_f32_e32 v119, 0xbee1c552, v107
	v_mul_f32_e32 v9, 0xbf5ff5aa, v106
	v_fma_f32 v56, 0xbf3bfb3b, v56, -v32
	v_fma_f32 v67, 0xbf3bfb3b, v96, -v54
	v_fmamk_f32 v32, v83, 0x3d64c772, v32
	v_add_f32_e32 v53, v119, v14
	v_fma_f32 v96, 0x3eae86e6, v11, -v9
	v_sub_f32_e32 v9, v14, v119
	v_add_f32_e32 v14, v56, v46
	v_add_f32_e32 v56, v67, v113
	v_fmamk_f32 v67, v11, 0xbeae86e6, v102
	v_mul_f32_e32 v55, 0xbf5ff5aa, v98
	v_fmac_f32_e32 v96, 0xbee1c552, v116
	v_fmamk_f32 v54, v97, 0x3d64c772, v54
	v_fmamk_f32 v83, v10, 0xbeae86e6, v105
	v_add_f32_e32 v32, v32, v46
	v_fmac_f32_e32 v67, 0xbee1c552, v116
	v_sub_f32_e32 v3, v45, v3
	v_sub_f32_e32 v2, v2, v4
	;; [unrolled: 1-line block ×3, first 2 shown]
	v_add_f32_e32 v120, v36, v46
	v_fma_f32 v55, 0x3eae86e6, v10, -v55
	v_add_f32_e32 v10, v96, v14
	v_add_f32_e32 v46, v54, v113
	v_fmac_f32_e32 v83, 0xbee1c552, v107
	v_sub_f32_e32 v54, v14, v96
	v_add_f32_e32 v96, v67, v32
	v_sub_f32_e32 v101, v32, v67
	v_sub_f32_e32 v5, v82, v5
	;; [unrolled: 1-line block ×5, first 2 shown]
	v_add_f32_e32 v45, v4, v3
	v_fma_f32 v118, 0xbf5ff5aa, v106, -v102
	v_fmac_f32_e32 v55, 0xbee1c552, v107
	v_sub_f32_e32 v97, v46, v83
	v_add_f32_e32 v102, v83, v46
	v_sub_f32_e32 v6, v15, v6
	v_sub_f32_e32 v12, v109, v108
	;; [unrolled: 1-line block ×7, first 2 shown]
	v_add_f32_e32 v5, v45, v5
	v_add_f32_e32 v45, v7, v2
	v_mul_f32_e32 v14, 0x3f4a47b2, v14
	v_mul_f32_e32 v67, 0x3d64c772, v32
	v_add_f32_e32 v1, v1, v115
	v_sub_f32_e32 v11, v56, v55
	v_add_f32_e32 v55, v55, v56
	v_sub_f32_e32 v13, v112, v111
	v_sub_f32_e32 v56, v7, v2
	;; [unrolled: 1-line block ×4, first 2 shown]
	v_add_f32_e32 v6, v45, v6
	v_fmamk_f32 v32, v32, 0x3d64c772, v14
	v_mul_f32_e32 v15, 0x3f4a47b2, v15
	v_mul_f32_e32 v45, 0x3d64c772, v46
	v_fma_f32 v67, 0x3f3bfb3b, v12, -v67
	v_fma_f32 v12, 0xbf3bfb3b, v12, -v14
	v_mul_f32_e32 v14, 0x3f08b237, v47
	v_mul_f32_e32 v47, 0xbf5ff5aa, v3
	v_fmac_f32_e32 v103, 0xbee1c552, v143
	v_fmamk_f32 v46, v46, 0x3d64c772, v15
	v_fma_f32 v45, 0x3f3bfb3b, v13, -v45
	v_fma_f32 v13, 0xbf3bfb3b, v13, -v15
	v_fma_f32 v15, 0xbf5ff5aa, v3, -v14
	v_fmamk_f32 v83, v4, 0xbeae86e6, v14
	v_mul_f32_e32 v3, 0x3f08b237, v56
	v_fma_f32 v14, 0x3eae86e6, v4, -v47
	v_mul_f32_e32 v4, 0xbf5ff5aa, v2
	v_fmamk_f32 v56, v115, 0xbf955555, v1
	v_add_f32_e32 v0, v0, v114
	v_sub_f32_e32 v100, v104, v103
	v_add_f32_e32 v36, v103, v104
	v_fmamk_f32 v98, v7, 0xbeae86e6, v3
	v_fma_f32 v103, 0x3eae86e6, v7, -v4
	v_add_f32_e32 v7, v45, v56
	v_lshrrev_b32_e32 v45, 2, v68
	v_fmamk_f32 v47, v114, 0xbf955555, v0
	v_fma_f32 v82, 0xbf5ff5aa, v2, -v3
	v_add_f32_e32 v13, v13, v56
	v_fmac_f32_e32 v15, 0xbee1c552, v5
	v_mul_u32_u24_e32 v45, 28, v45
	v_add_f32_e32 v32, v32, v47
	v_add_f32_e32 v4, v67, v47
	;; [unrolled: 1-line block ×3, first 2 shown]
	v_fmac_f32_e32 v82, 0xbee1c552, v6
	v_fmac_f32_e32 v98, 0xbee1c552, v6
	;; [unrolled: 1-line block ×3, first 2 shown]
	v_or_b32_e32 v45, v45, v95
	v_lshrrev_b32_e32 v47, 2, v77
	v_add_f32_e32 v46, v46, v56
	v_fmac_f32_e32 v83, 0xbee1c552, v5
	v_sub_f32_e32 v2, v4, v82
	v_add_f32_e32 v3, v15, v7
	v_add_f32_e32 v4, v82, v4
	v_sub_f32_e32 v5, v7, v15
	v_sub_f32_e32 v7, v13, v14
	v_add_f32_e32 v13, v14, v13
	v_add_f32_e32 v14, v98, v32
	v_sub_f32_e32 v82, v32, v98
	v_lshl_add_u32 v32, v45, 3, 0
	v_mul_u32_u24_e32 v45, 28, v47
	v_sub_f32_e32 v15, v46, v83
	v_add_f32_e32 v83, v83, v46
	v_lshrrev_b32_e32 v46, 2, v69
	ds_write2_b64 v32, v[16:17], v[33:34] offset1:4
	v_or_b32_e32 v16, v45, v95
	ds_write2_b64 v32, v[28:29], v[24:25] offset0:8 offset1:12
	v_lshrrev_b32_e32 v24, 2, v85
	v_mul_u32_u24_e32 v17, 28, v46
	v_lshrrev_b32_e32 v25, 2, v86
	v_lshl_add_u32 v16, v16, 3, 0
	ds_write2_b64 v32, v[26:27], v[30:31] offset0:16 offset1:20
	v_mul_u32_u24_e32 v24, 28, v24
	v_or_b32_e32 v17, v17, v95
	ds_write_b64 v32, v[37:38] offset:192
	ds_write2_b64 v16, v[18:19], v[50:51] offset1:4
	ds_write2_b64 v16, v[43:44], v[39:40] offset0:8 offset1:12
	v_mul_u32_u24_e32 v18, 28, v25
	v_or_b32_e32 v19, v24, v95
	v_fmac_f32_e32 v118, 0xbee1c552, v116
	v_lshl_add_u32 v17, v17, 3, 0
	v_fmac_f32_e32 v103, 0xbee1c552, v6
	ds_write2_b64 v16, v[41:42], v[48:49] offset0:16 offset1:20
	ds_write_b64 v16, v[57:58] offset:192
	ds_write2_b64 v17, v[20:21], v[99:100] offset1:4
	v_or_b32_e32 v16, v18, v95
	v_lshl_add_u32 v18, v19, 3, 0
	v_sub_f32_e32 v52, v120, v118
	v_add_f32_e32 v8, v118, v120
	v_add_f32_e32 v6, v103, v12
	v_lshl_add_u32 v16, v16, 3, 0
	v_sub_f32_e32 v12, v12, v103
	ds_write2_b64 v17, v[63:64], v[59:60] offset0:8 offset1:12
	ds_write2_b64 v17, v[61:62], v[65:66] offset0:16 offset1:20
	ds_write_b64 v17, v[35:36] offset:192
	ds_write2_b64 v18, v[22:23], v[96:97] offset1:4
	ds_write2_b64 v18, v[10:11], v[52:53] offset0:8 offset1:12
	ds_write2_b64 v18, v[8:9], v[54:55] offset0:16 offset1:20
	ds_write_b64 v18, v[101:102] offset:192
	ds_write2_b64 v16, v[0:1], v[14:15] offset1:4
	ds_write2_b64 v16, v[6:7], v[2:3] offset0:8 offset1:12
	ds_write2_b64 v16, v[4:5], v[12:13] offset0:16 offset1:20
	ds_write_b64 v16, v[82:83] offset:192
	s_waitcnt lgkmcnt(0)
	s_barrier
	buffer_gl0_inv
	ds_read2_b64 v[0:3], v84 offset1:56
	ds_read_b32 v67, v84 offset:7844
	ds_read2_b64 v[8:11], v90 offset0:128 offset1:212
	ds_read2_b64 v[35:38], v91 offset0:12 offset1:68
	;; [unrolled: 1-line block ×8, first 2 shown]
	s_waitcnt lgkmcnt(7)
	ds_read2_b64 v[11:14], v78 offset0:192 offset1:248
	ds_read2_b64 v[43:46], v81 offset0:76 offset1:132
	;; [unrolled: 1-line block ×8, first 2 shown]
	s_and_saveexec_b32 s1, s0
	s_cbranch_execz .LBB0_23
; %bb.22:
	ds_read_b64 v[82:83], v84 offset:7616
	ds_read_b64 v[75:76], v84 offset:15456
.LBB0_23:
	s_or_b32 exec_lo, exec_lo, s1
	v_mov_b32_e32 v89, 0x4925
	v_lshrrev_b16 v78, 2, v88
	v_lshrrev_b16 v80, 2, v77
	;; [unrolled: 1-line block ×5, first 2 shown]
	v_mul_u32_u24_sdwa v78, v78, v89 dst_sel:DWORD dst_unused:UNUSED_PAD src0_sel:WORD_0 src1_sel:DWORD
	v_and_b32_e32 v80, 63, v80
	v_lshrrev_b16 v92, 2, v69
	v_mov_b32_e32 v90, 3
	v_mul_u32_u24_sdwa v79, v79, v89 dst_sel:DWORD dst_unused:UNUSED_PAD src0_sel:WORD_0 src1_sel:DWORD
	v_lshrrev_b32_e32 v91, 17, v78
	v_mul_u32_u24_sdwa v78, v81, v89 dst_sel:DWORD dst_unused:UNUSED_PAD src0_sel:WORD_0 src1_sel:DWORD
	v_mul_u32_u24_sdwa v81, v93, v89 dst_sel:DWORD dst_unused:UNUSED_PAD src0_sel:WORD_0 src1_sel:DWORD
	v_and_b32_e32 v92, 63, v92
	v_lshrrev_b32_e32 v126, 17, v79
	v_mul_lo_u16 v93, v91, 28
	v_lshrrev_b32_e32 v127, 17, v78
	v_lshrrev_b32_e32 v128, 17, v81
	v_mul_lo_u16 v78, v80, 37
	v_mul_lo_u16 v80, v92, 37
	v_sub_nc_u16 v79, v88, v93
	v_mul_lo_u16 v92, v127, 28
	v_mul_lo_u16 v93, v128, 28
	v_lshrrev_b16 v130, 8, v78
	v_lshrrev_b16 v131, 8, v80
	v_lshlrev_b32_sdwa v129, v90, v79 dst_sel:DWORD dst_unused:UNUSED_PAD src0_sel:DWORD src1_sel:WORD_0
	v_mul_lo_u16 v81, v126, 28
	v_sub_nc_u16 v72, v72, v93
	v_mul_lo_u16 v79, v130, 28
	v_sub_nc_u16 v73, v73, v92
	v_mul_lo_u16 v80, v131, 28
	v_lshrrev_b16 v100, 2, v74
	v_lshlrev_b32_sdwa v134, v90, v72 dst_sel:DWORD dst_unused:UNUSED_PAD src0_sel:DWORD src1_sel:WORD_0
	v_sub_nc_u16 v72, v77, v79
	v_lshrrev_b16 v79, 2, v85
	v_sub_nc_u16 v78, v87, v81
	v_lshlrev_b32_sdwa v133, v90, v73 dst_sel:DWORD dst_unused:UNUSED_PAD src0_sel:DWORD src1_sel:WORD_0
	v_sub_nc_u16 v73, v69, v80
	v_lshlrev_b32_sdwa v135, v90, v72 dst_sel:DWORD dst_unused:UNUSED_PAD src0_sel:DWORD src1_sel:BYTE_0
	v_lshrrev_b16 v72, 2, v86
	v_add_nc_u16 v80, v68, 0x1f8
	v_add_nc_u16 v81, v68, 0x230
	v_and_b32_e32 v102, 63, v79
	v_mul_u32_u24_sdwa v100, v100, v89 dst_sel:DWORD dst_unused:UNUSED_PAD src0_sel:WORD_0 src1_sel:DWORD
	v_mul_u32_u24_sdwa v101, v72, v89 dst_sel:DWORD dst_unused:UNUSED_PAD src0_sel:WORD_0 src1_sel:DWORD
	v_add_nc_u16 v104, v68, 0x268
	v_add_nc_u16 v105, v68, 0x2a0
	;; [unrolled: 1-line block ×4, first 2 shown]
	v_lshrrev_b16 v103, 2, v80
	v_lshrrev_b16 v107, 2, v81
	v_lshrrev_b32_e32 v137, 17, v101
	v_mul_lo_u16 v101, v102, 37
	v_lshrrev_b32_e32 v138, 17, v100
	v_add_nc_u16 v118, v68, 0x348
	v_lshrrev_b16 v108, 2, v104
	v_lshlrev_b32_sdwa v132, v90, v78 dst_sel:DWORD dst_unused:UNUSED_PAD src0_sel:DWORD src1_sel:WORD_0
	v_subrev_nc_u32_e32 v78, 28, v68
	v_lshrrev_b16 v109, 2, v105
	v_lshrrev_b16 v110, 2, v106
	;; [unrolled: 1-line block ×3, first 2 shown]
	v_mul_u32_u24_sdwa v102, v103, v89 dst_sel:DWORD dst_unused:UNUSED_PAD src0_sel:WORD_0 src1_sel:DWORD
	v_mul_u32_u24_sdwa v103, v107, v89 dst_sel:DWORD dst_unused:UNUSED_PAD src0_sel:WORD_0 src1_sel:DWORD
	v_lshrrev_b16 v139, 8, v101
	v_mul_lo_u16 v101, v138, 28
	v_lshrrev_b16 v113, 2, v118
	v_mul_u32_u24_sdwa v107, v108, v89 dst_sel:DWORD dst_unused:UNUSED_PAD src0_sel:WORD_0 src1_sel:DWORD
	v_lshlrev_b32_sdwa v136, v90, v73 dst_sel:DWORD dst_unused:UNUSED_PAD src0_sel:DWORD src1_sel:BYTE_0
	v_mov_b32_e32 v73, 0
	v_cndmask_b32_e64 v72, v78, v68, s0
	v_mul_u32_u24_sdwa v108, v109, v89 dst_sel:DWORD dst_unused:UNUSED_PAD src0_sel:WORD_0 src1_sel:DWORD
	v_mul_u32_u24_sdwa v109, v110, v89 dst_sel:DWORD dst_unused:UNUSED_PAD src0_sel:WORD_0 src1_sel:DWORD
	;; [unrolled: 1-line block ×3, first 2 shown]
	v_lshrrev_b32_e32 v141, 17, v103
	v_sub_nc_u16 v74, v74, v101
	v_mul_u32_u24_sdwa v111, v113, v89 dst_sel:DWORD dst_unused:UNUSED_PAD src0_sel:WORD_0 src1_sel:DWORD
	v_mul_lo_u16 v100, v137, 28
	v_lshrrev_b32_e32 v140, 17, v102
	v_lshrrev_b32_e32 v142, 17, v107
	v_mul_lo_u16 v107, v139, 28
	v_lshlrev_b64 v[78:79], 3, v[72:73]
	v_lshrrev_b32_e32 v143, 17, v108
	v_lshrrev_b32_e32 v145, 17, v110
	v_lshlrev_b32_sdwa v148, v90, v74 dst_sel:DWORD dst_unused:UNUSED_PAD src0_sel:DWORD src1_sel:WORD_0
	v_mul_lo_u16 v74, v141, 28
	v_lshrrev_b32_e32 v144, 17, v109
	v_lshrrev_b32_e32 v146, 17, v111
	v_sub_nc_u16 v100, v86, v100
	v_mul_lo_u16 v108, v140, 28
	v_sub_nc_u16 v107, v85, v107
	v_mul_lo_u16 v110, v143, 28
	;; [unrolled: 2-line block ×3, first 2 shown]
	v_add_co_u32 v78, s1, s8, v78
	v_lshlrev_b32_sdwa v147, v90, v100 dst_sel:DWORD dst_unused:UNUSED_PAD src0_sel:DWORD src1_sel:WORD_0
	v_mul_lo_u16 v109, v142, 28
	v_sub_nc_u16 v80, v80, v108
	v_mul_lo_u16 v108, v144, 28
	v_mul_lo_u16 v119, v146, 28
	v_lshlrev_b32_sdwa v149, v90, v107 dst_sel:DWORD dst_unused:UNUSED_PAD src0_sel:DWORD src1_sel:BYTE_0
	v_add_co_ci_u32_e64 v79, s1, s9, v79, s1
	v_sub_nc_u16 v114, v105, v110
	v_lshlrev_b32_sdwa v151, v90, v74 dst_sel:DWORD dst_unused:UNUSED_PAD src0_sel:DWORD src1_sel:WORD_0
	v_sub_nc_u16 v74, v112, v81
	s_clause 0x5
	global_load_dwordx2 v[92:93], v129, s[8:9] offset:192
	global_load_dwordx2 v[94:95], v132, s[8:9] offset:192
	;; [unrolled: 1-line block ×6, first 2 shown]
	v_sub_nc_u16 v113, v104, v109
	global_load_dwordx2 v[104:105], v135, s[8:9] offset:192
	v_sub_nc_u16 v120, v106, v108
	s_clause 0x2
	global_load_dwordx2 v[106:107], v136, s[8:9] offset:192
	global_load_dwordx2 v[108:109], v149, s[8:9] offset:192
	global_load_dwordx2 v[110:111], v[78:79], off offset:192
	v_sub_nc_u16 v78, v118, v119
	v_lshlrev_b32_sdwa v150, v90, v80 dst_sel:DWORD dst_unused:UNUSED_PAD src0_sel:DWORD src1_sel:WORD_0
	v_lshlrev_b32_sdwa v153, v90, v114 dst_sel:DWORD dst_unused:UNUSED_PAD src0_sel:DWORD src1_sel:WORD_0
	;; [unrolled: 1-line block ×6, first 2 shown]
	s_clause 0x6
	global_load_dwordx2 v[112:113], v150, s[8:9] offset:192
	global_load_dwordx2 v[114:115], v151, s[8:9] offset:192
	;; [unrolled: 1-line block ×7, first 2 shown]
	v_cmp_lt_u32_e64 s1, 27, v68
	v_lshlrev_b32_e32 v72, 3, v72
	v_mov_b32_e32 v157, 0x1c0
	v_lshlrev_b32_e32 v81, 2, v68
	v_lshlrev_b32_e32 v80, 2, v77
	v_cndmask_b32_e64 v74, 0, 0x1c0, s1
	v_lshlrev_b32_e32 v79, 2, v69
	v_lshlrev_b32_e32 v78, 2, v85
	;; [unrolled: 1-line block ×3, first 2 shown]
	s_waitcnt vmcnt(0) lgkmcnt(0)
	v_add3_u32 v158, 0, v74, v72
	v_mul_u32_u24_e32 v72, 0x1c0, v137
	v_mul_u32_u24_e32 v74, 0x1c0, v91
	;; [unrolled: 1-line block ×3, first 2 shown]
	v_mul_u32_u24_sdwa v126, v130, v157 dst_sel:DWORD dst_unused:UNUSED_PAD src0_sel:WORD_0 src1_sel:DWORD
	v_mul_u32_u24_sdwa v130, v131, v157 dst_sel:DWORD dst_unused:UNUSED_PAD src0_sel:WORD_0 src1_sel:DWORD
	;; [unrolled: 1-line block ×3, first 2 shown]
	v_add3_u32 v137, 0, v72, v147
	v_add3_u32 v129, 0, v74, v129
	v_lshlrev_b32_e32 v74, 2, v88
	v_add3_u32 v91, 0, v91, v132
	v_lshlrev_b32_e32 v72, 2, v87
	v_mul_u32_u24_e32 v87, 0x1c0, v127
	v_mul_u32_u24_e32 v88, 0x1c0, v128
	;; [unrolled: 1-line block ×10, first 2 shown]
	v_add3_u32 v133, 0, v87, v133
	v_add3_u32 v134, 0, v88, v134
	;; [unrolled: 1-line block ×13, first 2 shown]
	s_barrier
	buffer_gl0_inv
	v_mul_f32_e32 v87, v93, v60
	v_mul_f32_e32 v88, v93, v59
	;; [unrolled: 1-line block ×12, first 2 shown]
	v_fmac_f32_e32 v87, v92, v59
	v_fma_f32 v59, v92, v60, -v88
	v_fmac_f32_e32 v141, v63, v96
	v_mul_f32_e32 v63, v105, v36
	v_mul_f32_e32 v88, v67, v111
	;; [unrolled: 1-line block ×3, first 2 shown]
	v_fmac_f32_e32 v93, v94, v61
	v_fma_f32 v61, v64, v96, -v97
	v_mul_f32_e32 v64, v105, v35
	v_fma_f32 v60, v94, v62, -v95
	v_fmac_f32_e32 v142, v65, v98
	v_fma_f32 v62, v66, v98, -v99
	v_mul_f32_e32 v65, v107, v38
	v_mul_f32_e32 v66, v107, v37
	v_fmac_f32_e32 v143, v100, v41
	v_fma_f32 v41, v100, v42, -v101
	v_mul_f32_e32 v94, v109, v40
	v_mul_f32_e32 v42, v109, v39
	;; [unrolled: 1-line block ×13, first 2 shown]
	v_fmac_f32_e32 v144, v57, v102
	v_fma_f32 v57, v58, v102, -v103
	v_mul_f32_e32 v58, v53, v123
	v_mul_f32_e32 v102, v56, v125
	v_fmac_f32_e32 v63, v104, v35
	v_mul_f32_e32 v35, v55, v125
	v_fmac_f32_e32 v88, v110, v10
	v_fma_f32 v10, v67, v110, -v92
	v_fma_f32 v64, v104, v36, -v64
	v_fmac_f32_e32 v65, v106, v37
	v_fma_f32 v66, v106, v38, -v66
	v_fmac_f32_e32 v94, v108, v39
	;; [unrolled: 2-line block ×9, first 2 shown]
	v_fma_f32 v105, v56, v124, -v35
	v_sub_f32_e32 v47, v0, v88
	v_sub_f32_e32 v48, v1, v10
	v_sub_f32_e32 v49, v2, v63
	v_sub_f32_e32 v50, v3, v64
	v_sub_f32_e32 v51, v4, v65
	v_sub_f32_e32 v52, v5, v66
	v_sub_f32_e32 v53, v6, v94
	v_sub_f32_e32 v54, v7, v67
	v_sub_f32_e32 v35, v27, v143
	v_sub_f32_e32 v36, v28, v41
	v_sub_f32_e32 v37, v29, v87
	v_sub_f32_e32 v38, v30, v59
	v_sub_f32_e32 v39, v31, v93
	v_sub_f32_e32 v40, v32, v60
	v_sub_f32_e32 v41, v33, v141
	v_sub_f32_e32 v42, v34, v61
	v_sub_f32_e32 v43, v11, v142
	v_sub_f32_e32 v44, v12, v62
	v_sub_f32_e32 v45, v8, v144
	v_sub_f32_e32 v46, v9, v57
	v_sub_f32_e32 v55, v13, v95
	v_sub_f32_e32 v56, v14, v92
	v_sub_f32_e32 v57, v15, v97
	v_sub_f32_e32 v58, v16, v96
	v_sub_f32_e32 v59, v17, v99
	v_sub_f32_e32 v60, v18, v98
	v_sub_f32_e32 v61, v19, v101
	v_sub_f32_e32 v62, v20, v100
	v_sub_f32_e32 v63, v21, v107
	v_sub_f32_e32 v64, v22, v103
	v_sub_f32_e32 v65, v23, v111
	v_sub_f32_e32 v66, v24, v104
	v_sub_f32_e32 v87, v25, v102
	v_sub_f32_e32 v88, v26, v105
	v_fma_f32 v0, v0, 2.0, -v47
	v_fma_f32 v1, v1, 2.0, -v48
	;; [unrolled: 1-line block ×34, first 2 shown]
	ds_write2_b64 v158, v[0:1], v[47:48] offset1:28
	ds_write2_b64 v126, v[2:3], v[49:50] offset1:28
	;; [unrolled: 1-line block ×17, first 2 shown]
	s_and_saveexec_b32 s1, s0
	s_cbranch_execz .LBB0_25
; %bb.24:
	v_add_nc_u16 v0, v68, 0x3b8
	v_lshrrev_b16 v1, 2, v0
	v_mul_u32_u24_sdwa v1, v1, v89 dst_sel:DWORD dst_unused:UNUSED_PAD src0_sel:WORD_0 src1_sel:DWORD
	v_lshrrev_b32_e32 v1, 17, v1
	v_mul_lo_u16 v1, v1, 28
	v_sub_nc_u16 v0, v0, v1
	v_lshlrev_b32_sdwa v2, v90, v0 dst_sel:DWORD dst_unused:UNUSED_PAD src0_sel:DWORD src1_sel:WORD_0
	global_load_dwordx2 v[0:1], v2, s[8:9] offset:192
	s_waitcnt vmcnt(0)
	v_mul_f32_e32 v3, v75, v1
	v_mul_f32_e32 v4, v76, v1
	v_fma_f32 v1, v76, v0, -v3
	v_fmac_f32_e32 v4, v75, v0
	v_sub_f32_e32 v1, v83, v1
	v_sub_f32_e32 v0, v82, v4
	v_add_nc_u32_e32 v4, 0, v2
	v_fma_f32 v3, v83, 2.0, -v1
	v_fma_f32 v2, v82, 2.0, -v0
	v_add_nc_u32_e32 v4, 0x3800, v4
	ds_write2_b64 v4, v[2:3], v[0:1] offset0:112 offset1:140
.LBB0_25:
	s_or_b32 exec_lo, exec_lo, s1
	v_mul_u32_u24_e32 v0, 6, v68
	s_waitcnt lgkmcnt(0)
	s_barrier
	buffer_gl0_inv
	v_mov_b32_e32 v1, 0x2493
	v_lshlrev_b32_e32 v0, 3, v0
	v_lshrrev_b16 v2, 3, v85
	v_add_nc_u32_e32 v60, 0x1000, v84
	v_add_nc_u32_e32 v63, 0x400, v84
	;; [unrolled: 1-line block ×3, first 2 shown]
	s_clause 0x2
	global_load_dwordx4 v[28:31], v0, s[8:9] offset:416
	global_load_dwordx4 v[4:7], v0, s[8:9] offset:432
	global_load_dwordx4 v[48:51], v0, s[8:9] offset:448
	v_lshrrev_b16 v0, 3, v86
	v_and_b32_e32 v2, 31, v2
	v_add_nc_u32_e32 v64, 0x800, v84
	v_add_nc_u32_e32 v62, 0x2000, v84
	;; [unrolled: 1-line block ×3, first 2 shown]
	v_mul_u32_u24_sdwa v0, v0, v1 dst_sel:DWORD dst_unused:UNUSED_PAD src0_sel:WORD_0 src1_sel:DWORD
	v_lshrrev_b16 v1, 3, v69
	v_mul_lo_u16 v2, v2, 37
	v_add_nc_u32_e32 v66, 0x3000, v84
	v_add_nc_u32_e32 v67, 0x2400, v84
	v_lshrrev_b32_e32 v0, 16, v0
	v_and_b32_e32 v1, 31, v1
	v_lshrrev_b16 v2, 8, v2
	v_add_nc_u32_e32 v76, 0x1c00, v84
	v_mul_lo_u16 v0, v0, 56
	v_mul_lo_u16 v1, v1, 37
	v_sub_nc_u16 v0, v86, v0
	v_lshrrev_b16 v1, 8, v1
	v_and_b32_e32 v75, 0xffff, v0
	v_mul_lo_u16 v1, v1, 56
	v_mul_u32_u24_e32 v0, 6, v75
	v_sub_nc_u16 v1, v69, v1
	v_add_nc_u32_e32 v69, 0x3800, v84
	v_lshlrev_b32_e32 v0, 3, v0
	v_and_b32_e32 v83, 0xff, v1
	s_clause 0x2
	global_load_dwordx4 v[44:47], v0, s[8:9] offset:416
	global_load_dwordx4 v[40:43], v0, s[8:9] offset:432
	;; [unrolled: 1-line block ×3, first 2 shown]
	v_mul_lo_u16 v0, v2, 56
	v_mul_u32_u24_e32 v1, 6, v83
	v_lshl_add_u32 v83, v83, 3, 0
	v_sub_nc_u16 v0, v85, v0
	v_and_b32_e32 v82, 0xff, v0
	v_lshlrev_b32_e32 v0, 3, v1
	v_mul_u32_u24_e32 v1, 6, v82
	global_load_dwordx4 v[32:35], v0, s[8:9] offset:416
	v_lshlrev_b32_e32 v1, 3, v1
	s_clause 0x4
	global_load_dwordx4 v[24:27], v1, s[8:9] offset:416
	global_load_dwordx4 v[20:23], v0, s[8:9] offset:432
	;; [unrolled: 1-line block ×5, first 2 shown]
	ds_read2_b64 v[56:59], v60 offset0:48 offset1:104
	ds_read2_b64 v[0:3], v63 offset0:96 offset1:152
	ds_read2_b64 v[52:55], v84 offset1:56
	ds_read2_b64 v[85:88], v65 offset0:16 offset1:72
	ds_read_b64 v[137:138], v84 offset:15232
	ds_read2_b64 v[89:92], v64 offset0:80 offset1:136
	ds_read2_b64 v[93:96], v84 offset0:112 offset1:168
	;; [unrolled: 1-line block ×12, first 2 shown]
	s_waitcnt vmcnt(11) lgkmcnt(16)
	v_mul_f32_e32 v141, v31, v57
	v_mul_f32_e32 v142, v31, v56
	;; [unrolled: 1-line block ×4, first 2 shown]
	s_waitcnt lgkmcnt(15)
	v_mul_f32_e32 v139, v29, v3
	v_mul_f32_e32 v140, v29, v2
	s_waitcnt vmcnt(10) lgkmcnt(13)
	v_mul_f32_e32 v144, v88, v5
	v_mul_f32_e32 v145, v87, v5
	s_waitcnt lgkmcnt(11)
	v_mul_f32_e32 v146, v90, v29
	v_mul_f32_e32 v29, v89, v29
	v_fmac_f32_e32 v141, v30, v56
	v_fma_f32 v56, v30, v57, -v142
	v_fmac_f32_e32 v143, v58, v30
	v_fma_f32 v30, v59, v30, -v31
	s_waitcnt lgkmcnt(6)
	v_mul_f32_e32 v59, v110, v5
	v_mul_f32_e32 v5, v109, v5
	;; [unrolled: 1-line block ×6, first 2 shown]
	v_fmac_f32_e32 v139, v28, v2
	v_fma_f32 v2, v28, v3, -v140
	v_fma_f32 v3, v90, v28, -v29
	s_waitcnt vmcnt(9)
	v_mul_f32_e32 v90, v108, v51
	v_fmac_f32_e32 v144, v87, v4
	v_fma_f32 v87, v88, v4, -v145
	v_fmac_f32_e32 v59, v109, v4
	v_fma_f32 v4, v110, v4, -v5
	s_waitcnt lgkmcnt(5)
	v_mul_f32_e32 v5, v114, v49
	v_fmac_f32_e32 v146, v89, v28
	v_mul_f32_e32 v28, v104, v49
	v_fmac_f32_e32 v31, v97, v6
	v_fma_f32 v57, v98, v6, -v57
	v_fmac_f32_e32 v58, v99, v6
	v_fma_f32 v6, v100, v6, -v7
	v_mul_f32_e32 v7, v106, v51
	v_mul_f32_e32 v89, v105, v51
	v_fmac_f32_e32 v90, v107, v50
	v_fmac_f32_e32 v5, v113, v48
	v_mul_f32_e32 v29, v103, v49
	v_mul_f32_e32 v51, v107, v51
	;; [unrolled: 1-line block ×3, first 2 shown]
	v_fmac_f32_e32 v7, v105, v50
	v_fma_f32 v88, v106, v50, -v89
	v_fmac_f32_e32 v28, v103, v48
	v_add_f32_e32 v97, v87, v57
	v_sub_f32_e32 v57, v57, v87
	v_add_f32_e32 v87, v146, v90
	v_add_f32_e32 v99, v143, v5
	v_fma_f32 v50, v108, v50, -v51
	v_fma_f32 v29, v104, v48, -v29
	v_fma_f32 v48, v114, v48, -v49
	v_add_f32_e32 v49, v139, v7
	v_add_f32_e32 v51, v2, v88
	v_sub_f32_e32 v88, v2, v88
	v_add_f32_e32 v2, v141, v28
	v_add_f32_e32 v103, v59, v58
	v_sub_f32_e32 v105, v143, v5
	;; [unrolled: 3-line block ×3, first 2 shown]
	v_add_f32_e32 v56, v144, v31
	v_add_f32_e32 v98, v3, v50
	;; [unrolled: 1-line block ×3, first 2 shown]
	v_sub_f32_e32 v50, v3, v50
	v_add_f32_e32 v3, v2, v49
	v_add_f32_e32 v109, v103, v5
	v_sub_f32_e32 v28, v141, v28
	v_sub_f32_e32 v31, v31, v144
	v_add_f32_e32 v104, v4, v6
	v_sub_f32_e32 v30, v30, v48
	v_sub_f32_e32 v48, v58, v59
	;; [unrolled: 1-line block ×3, first 2 shown]
	v_add_f32_e32 v4, v89, v51
	v_add_f32_e32 v58, v100, v98
	v_sub_f32_e32 v59, v2, v49
	v_sub_f32_e32 v49, v49, v56
	;; [unrolled: 1-line block ×3, first 2 shown]
	v_add_f32_e32 v56, v56, v3
	v_add_f32_e32 v2, v54, v109
	v_sub_f32_e32 v54, v99, v87
	v_sub_f32_e32 v87, v87, v103
	;; [unrolled: 1-line block ×3, first 2 shown]
	s_waitcnt vmcnt(8)
	v_mul_f32_e32 v103, v86, v47
	v_mul_f32_e32 v47, v85, v47
	v_sub_f32_e32 v7, v139, v7
	v_sub_f32_e32 v90, v146, v90
	;; [unrolled: 1-line block ×5, first 2 shown]
	v_add_f32_e32 v97, v97, v4
	v_add_f32_e32 v58, v104, v58
	;; [unrolled: 1-line block ×3, first 2 shown]
	v_sub_f32_e32 v52, v31, v28
	v_fmac_f32_e32 v103, v85, v46
	v_fma_f32 v85, v86, v46, -v47
	v_add_f32_e32 v46, v48, v105
	v_add_f32_e32 v47, v6, v30
	;; [unrolled: 1-line block ×5, first 2 shown]
	v_sub_f32_e32 v53, v57, v29
	v_sub_f32_e32 v55, v100, v98
	;; [unrolled: 1-line block ×11, first 2 shown]
	v_mul_f32_e32 v49, 0x3f4a47b2, v49
	v_mul_f32_e32 v51, 0x3f4a47b2, v51
	v_add_f32_e32 v46, v46, v90
	v_mul_f32_e32 v90, 0x3d64c772, v107
	v_add_f32_e32 v47, v47, v50
	v_mul_f32_e32 v50, 0x3d64c772, v89
	v_mul_f32_e32 v52, 0x3f08b237, v52
	v_add_f32_e32 v110, v57, v29
	v_sub_f32_e32 v31, v7, v31
	v_sub_f32_e32 v29, v29, v88
	v_add_f32_e32 v7, v108, v7
	v_mul_f32_e32 v53, 0x3f08b237, v53
	v_mul_f32_e32 v108, 0xbf5ff5aa, v28
	;; [unrolled: 1-line block ×4, first 2 shown]
	v_fmamk_f32 v107, v107, 0x3d64c772, v49
	v_fma_f32 v90, 0x3f3bfb3b, v59, -v90
	v_fma_f32 v49, 0xbf3bfb3b, v59, -v49
	v_mul_f32_e32 v59, 0x3d64c772, v99
	v_fmamk_f32 v89, v89, 0x3d64c772, v51
	v_fma_f32 v50, 0x3f3bfb3b, v106, -v50
	v_fma_f32 v51, 0xbf3bfb3b, v106, -v51
	v_mul_f32_e32 v106, 0x3d64c772, v100
	v_mul_f32_e32 v86, 0x3f08b237, v86
	v_fma_f32 v113, 0xbf5ff5aa, v28, -v52
	v_mul_f32_e32 v28, 0xbf5ff5aa, v105
	v_sub_f32_e32 v57, v88, v57
	v_add_f32_e32 v88, v110, v88
	v_mul_f32_e32 v110, 0xbf5ff5aa, v29
	v_mul_f32_e32 v104, 0x3f08b237, v104
	v_fma_f32 v114, 0xbf5ff5aa, v29, -v53
	v_mul_f32_e32 v29, 0xbf5ff5aa, v30
	v_fmamk_f32 v99, v99, 0x3d64c772, v87
	v_fma_f32 v59, 0x3f3bfb3b, v54, -v59
	v_fma_f32 v54, 0xbf3bfb3b, v54, -v87
	v_fmamk_f32 v87, v100, 0x3d64c772, v98
	v_fma_f32 v100, 0x3f3bfb3b, v55, -v106
	v_fma_f32 v55, 0xbf3bfb3b, v55, -v98
	;; [unrolled: 1-line block ×3, first 2 shown]
	v_fmamk_f32 v86, v48, 0xbeae86e6, v86
	v_fma_f32 v48, 0x3eae86e6, v48, -v28
	s_waitcnt lgkmcnt(3)
	v_mul_f32_e32 v106, v124, v45
	v_mul_f32_e32 v28, v123, v45
	v_fmamk_f32 v52, v31, 0xbeae86e6, v52
	v_fma_f32 v108, 0x3eae86e6, v31, -v108
	v_fma_f32 v105, 0xbf5ff5aa, v30, -v104
	;; [unrolled: 1-line block ×3, first 2 shown]
	v_fmac_f32_e32 v106, v123, v44
	v_fma_f32 v123, v124, v44, -v28
	ds_read2_b64 v[28:31], v69 offset1:56
	v_fmamk_f32 v53, v57, 0xbeae86e6, v53
	v_fma_f32 v57, 0x3eae86e6, v57, -v110
	v_fmamk_f32 v104, v6, 0xbeae86e6, v104
	s_waitcnt vmcnt(7)
	v_mul_f32_e32 v110, v102, v43
	v_mul_f32_e32 v6, v101, v43
	s_waitcnt vmcnt(6) lgkmcnt(1)
	v_mul_f32_e32 v124, v136, v37
	v_mul_f32_e32 v37, v135, v37
	s_waitcnt vmcnt(5)
	v_mul_f32_e32 v44, v92, v33
	v_fmac_f32_e32 v110, v101, v42
	v_fma_f32 v101, v102, v42, -v6
	v_mul_f32_e32 v102, v132, v41
	v_mul_f32_e32 v6, v131, v41
	;; [unrolled: 1-line block ×3, first 2 shown]
	v_fmac_f32_e32 v52, 0xbee1c552, v7
	v_mul_f32_e32 v139, v138, v39
	v_fmac_f32_e32 v113, 0xbee1c552, v7
	v_fmac_f32_e32 v108, 0xbee1c552, v7
	v_mul_f32_e32 v7, v137, v39
	v_fmamk_f32 v39, v56, 0xbf955555, v4
	v_fmamk_f32 v41, v97, 0xbf955555, v5
	;; [unrolled: 1-line block ×4, first 2 shown]
	v_fmac_f32_e32 v102, v131, v40
	v_fma_f32 v58, v132, v40, -v6
	v_mul_f32_e32 v40, v118, v35
	v_mul_f32_e32 v6, v117, v35
	v_fma_f32 v97, v136, v36, -v37
	v_fmac_f32_e32 v44, v91, v32
	v_fma_f32 v32, v92, v32, -v33
	s_waitcnt vmcnt(2)
	v_mul_f32_e32 v33, v116, v17
	v_mul_f32_e32 v17, v115, v17
	s_waitcnt lgkmcnt(0)
	v_mul_f32_e32 v37, v29, v19
	v_mul_f32_e32 v19, v28, v19
	v_fmac_f32_e32 v53, 0xbee1c552, v88
	v_fmac_f32_e32 v114, 0xbee1c552, v88
	;; [unrolled: 1-line block ×7, first 2 shown]
	v_fma_f32 v88, v138, v38, -v7
	v_mul_f32_e32 v47, v120, v27
	v_mul_f32_e32 v7, v119, v27
	v_fmac_f32_e32 v124, v135, v36
	v_mul_f32_e32 v35, v112, v21
	v_mul_f32_e32 v21, v111, v21
	;; [unrolled: 1-line block ×4, first 2 shown]
	v_fmac_f32_e32 v40, v117, v34
	v_fma_f32 v34, v118, v34, -v6
	s_waitcnt vmcnt(1)
	v_mul_f32_e32 v56, v130, v13
	v_mul_f32_e32 v6, v129, v13
	;; [unrolled: 1-line block ×4, first 2 shown]
	v_add_f32_e32 v27, v107, v39
	v_add_f32_e32 v15, v90, v39
	;; [unrolled: 1-line block ×3, first 2 shown]
	s_waitcnt vmcnt(0)
	v_mul_f32_e32 v49, v134, v9
	v_add_f32_e32 v39, v89, v41
	v_add_f32_e32 v50, v50, v41
	;; [unrolled: 1-line block ×3, first 2 shown]
	v_mul_f32_e32 v9, v133, v9
	v_add_f32_e32 v51, v99, v42
	v_add_f32_e32 v59, v59, v42
	;; [unrolled: 1-line block ×3, first 2 shown]
	v_mul_f32_e32 v54, v31, v11
	v_add_f32_e32 v89, v100, v43
	v_mul_f32_e32 v11, v30, v11
	v_fmac_f32_e32 v33, v115, v16
	v_fma_f32 v100, v116, v16, -v17
	v_fmac_f32_e32 v37, v28, v18
	v_fma_f32 v107, v29, v18, -v19
	v_fmac_f32_e32 v48, 0xbee1c552, v46
	v_add_f32_e32 v87, v87, v43
	v_add_f32_e32 v43, v55, v43
	v_fma_f32 v90, v120, v26, -v7
	v_fmac_f32_e32 v35, v111, v20
	v_fma_f32 v92, v112, v20, -v21
	v_fmac_f32_e32 v36, v125, v22
	;; [unrolled: 2-line block ×5, first 2 shown]
	v_fma_f32 v115, v31, v10, -v11
	v_sub_f32_e32 v7, v39, v52
	v_add_f32_e32 v8, v57, v38
	v_sub_f32_e32 v14, v38, v57
	v_add_f32_e32 v17, v52, v39
	v_add_f32_e32 v30, v44, v37
	v_add_f32_e32 v31, v32, v107
	v_add_f32_e32 v38, v40, v33
	v_add_f32_e32 v39, v34, v100
	v_fmac_f32_e32 v47, v119, v26
	v_fmac_f32_e32 v56, v129, v12
	v_fma_f32 v109, v130, v12, -v6
	v_add_f32_e32 v6, v53, v27
	v_sub_f32_e32 v9, v41, v108
	v_sub_f32_e32 v10, v15, v114
	v_add_f32_e32 v12, v114, v15
	v_add_f32_e32 v15, v108, v41
	v_sub_f32_e32 v16, v27, v53
	v_add_f32_e32 v20, v45, v42
	v_sub_f32_e32 v21, v43, v48
	v_sub_f32_e32 v26, v42, v45
	v_add_f32_e32 v27, v48, v43
	v_sub_f32_e32 v33, v40, v33
	v_sub_f32_e32 v34, v34, v100
	v_add_f32_e32 v40, v35, v36
	v_add_f32_e32 v41, v92, v99
	v_sub_f32_e32 v35, v36, v35
	v_sub_f32_e32 v36, v99, v92
	v_add_f32_e32 v42, v38, v30
	v_add_f32_e32 v43, v39, v31
	;; [unrolled: 1-line block ×3, first 2 shown]
	v_sub_f32_e32 v13, v50, v113
	v_add_f32_e32 v18, v104, v51
	v_sub_f32_e32 v28, v51, v104
	v_sub_f32_e32 v37, v44, v37
	;; [unrolled: 1-line block ×9, first 2 shown]
	v_add_f32_e32 v48, v35, v33
	v_add_f32_e32 v50, v36, v34
	v_sub_f32_e32 v51, v35, v33
	v_sub_f32_e32 v52, v36, v34
	v_add_f32_e32 v40, v40, v42
	v_add_f32_e32 v41, v41, v43
	v_sub_f32_e32 v35, v37, v35
	v_sub_f32_e32 v36, v32, v36
	v_sub_f32_e32 v33, v33, v37
	v_sub_f32_e32 v34, v34, v32
	v_add_f32_e32 v37, v48, v37
	v_add_f32_e32 v32, v50, v32
	v_mul_f32_e32 v42, 0x3f4a47b2, v30
	v_mul_f32_e32 v43, 0x3f4a47b2, v31
	;; [unrolled: 1-line block ×5, first 2 shown]
	v_add_f32_e32 v30, v93, v40
	v_add_f32_e32 v31, v94, v41
	v_mul_f32_e32 v52, 0x3f08b237, v52
	v_fmac_f32_e32 v86, 0xbee1c552, v46
	v_fmac_f32_e32 v98, 0xbee1c552, v46
	v_mul_f32_e32 v46, v122, v25
	v_mul_f32_e32 v25, v121, v25
	;; [unrolled: 1-line block ×4, first 2 shown]
	v_fmamk_f32 v40, v40, 0xbf955555, v30
	v_fmamk_f32 v41, v41, 0xbf955555, v31
	v_fmamk_f32 v38, v38, 0x3d64c772, v42
	v_fmamk_f32 v39, v39, 0x3d64c772, v43
	v_fma_f32 v48, 0x3f3bfb3b, v44, -v48
	v_fma_f32 v50, 0x3f3bfb3b, v45, -v50
	;; [unrolled: 1-line block ×4, first 2 shown]
	v_fmamk_f32 v44, v35, 0xbeae86e6, v51
	v_fmamk_f32 v45, v36, 0xbeae86e6, v52
	v_fma_f32 v51, 0xbf5ff5aa, v33, -v51
	v_fmac_f32_e32 v46, v121, v24
	v_fma_f32 v55, v122, v24, -v25
	v_sub_f32_e32 v19, v87, v86
	v_sub_f32_e32 v22, v59, v105
	v_add_f32_e32 v24, v105, v59
	v_add_f32_e32 v29, v86, v87
	v_fma_f32 v52, 0xbf5ff5aa, v34, -v52
	v_fma_f32 v53, 0x3eae86e6, v35, -v53
	;; [unrolled: 1-line block ×3, first 2 shown]
	v_add_f32_e32 v59, v38, v40
	v_add_f32_e32 v86, v39, v41
	;; [unrolled: 1-line block ×3, first 2 shown]
	v_fmac_f32_e32 v44, 0xbee1c552, v37
	v_fmac_f32_e32 v45, 0xbee1c552, v32
	;; [unrolled: 1-line block ×3, first 2 shown]
	v_add_f32_e32 v38, v48, v40
	v_add_f32_e32 v40, v42, v40
	;; [unrolled: 1-line block ×3, first 2 shown]
	v_fmac_f32_e32 v57, 0xbee1c552, v32
	v_fmac_f32_e32 v53, 0xbee1c552, v37
	;; [unrolled: 1-line block ×3, first 2 shown]
	v_add_f32_e32 v32, v45, v59
	v_sub_f32_e32 v33, v86, v44
	v_add_f32_e32 v37, v51, v39
	v_sub_f32_e32 v39, v39, v51
	v_sub_f32_e32 v42, v59, v45
	v_add_f32_e32 v43, v44, v86
	v_add_f32_e32 v44, v46, v54
	;; [unrolled: 1-line block ×6, first 2 shown]
	v_sub_f32_e32 v35, v41, v53
	v_sub_f32_e32 v36, v38, v52
	v_add_f32_e32 v38, v52, v38
	v_sub_f32_e32 v40, v40, v57
	v_add_f32_e32 v41, v53, v41
	v_sub_f32_e32 v46, v46, v54
	v_sub_f32_e32 v48, v55, v115
	;; [unrolled: 1-line block ×4, first 2 shown]
	v_add_f32_e32 v52, v56, v91
	v_add_f32_e32 v53, v109, v111
	v_sub_f32_e32 v54, v91, v56
	v_sub_f32_e32 v55, v111, v109
	v_add_f32_e32 v56, v50, v44
	v_add_f32_e32 v57, v51, v45
	;; [unrolled: 1-line block ×3, first 2 shown]
	v_sub_f32_e32 v25, v89, v98
	v_sub_f32_e32 v59, v50, v44
	;; [unrolled: 1-line block ×7, first 2 shown]
	v_add_f32_e32 v44, v54, v47
	v_add_f32_e32 v45, v55, v49
	v_sub_f32_e32 v90, v54, v47
	v_sub_f32_e32 v91, v55, v49
	v_sub_f32_e32 v47, v47, v46
	v_add_f32_e32 v52, v52, v56
	v_add_f32_e32 v53, v53, v57
	v_sub_f32_e32 v49, v49, v48
	v_sub_f32_e32 v54, v46, v54
	;; [unrolled: 1-line block ×3, first 2 shown]
	v_add_f32_e32 v46, v44, v46
	v_add_f32_e32 v48, v45, v48
	;; [unrolled: 1-line block ×4, first 2 shown]
	v_mul_f32_e32 v56, 0x3f4a47b2, v87
	v_mul_f32_e32 v57, 0x3f4a47b2, v89
	;; [unrolled: 1-line block ×8, first 2 shown]
	v_fmamk_f32 v52, v52, 0xbf955555, v44
	v_fmamk_f32 v53, v53, 0xbf955555, v45
	;; [unrolled: 1-line block ×4, first 2 shown]
	v_fma_f32 v87, 0x3f3bfb3b, v59, -v87
	v_fma_f32 v89, 0x3f3bfb3b, v86, -v89
	;; [unrolled: 1-line block ×4, first 2 shown]
	v_fmamk_f32 v59, v54, 0xbeae86e6, v90
	v_fmamk_f32 v86, v55, 0xbeae86e6, v91
	v_fma_f32 v90, 0xbf5ff5aa, v47, -v90
	v_fma_f32 v91, 0xbf5ff5aa, v49, -v91
	;; [unrolled: 1-line block ×4, first 2 shown]
	v_add_f32_e32 v93, v50, v52
	v_add_f32_e32 v94, v51, v53
	;; [unrolled: 1-line block ×6, first 2 shown]
	v_fmac_f32_e32 v59, 0xbee1c552, v46
	v_fmac_f32_e32 v86, 0xbee1c552, v48
	;; [unrolled: 1-line block ×6, first 2 shown]
	v_add_f32_e32 v46, v86, v93
	v_sub_f32_e32 v47, v94, v59
	v_add_f32_e32 v48, v54, v56
	v_sub_f32_e32 v49, v57, v92
	v_sub_f32_e32 v50, v55, v91
	v_add_f32_e32 v51, v90, v87
	v_add_f32_e32 v52, v91, v55
	v_sub_f32_e32 v53, v87, v90
	v_sub_f32_e32 v54, v56, v54
	v_add_f32_e32 v55, v92, v57
	v_sub_f32_e32 v56, v93, v86
	v_add_f32_e32 v57, v59, v94
	v_add_f32_e32 v59, v106, v139
	;; [unrolled: 1-line block ×5, first 2 shown]
	v_sub_f32_e32 v91, v103, v124
	v_sub_f32_e32 v85, v85, v97
	v_add_f32_e32 v92, v102, v110
	v_add_f32_e32 v93, v58, v101
	v_sub_f32_e32 v94, v110, v102
	v_sub_f32_e32 v58, v101, v58
	v_add_f32_e32 v95, v89, v59
	v_add_f32_e32 v96, v90, v86
	v_sub_f32_e32 v87, v106, v139
	v_sub_f32_e32 v88, v123, v88
	;; [unrolled: 1-line block ×8, first 2 shown]
	v_add_f32_e32 v99, v94, v91
	v_add_f32_e32 v100, v58, v85
	v_sub_f32_e32 v101, v94, v91
	v_sub_f32_e32 v102, v58, v85
	v_add_f32_e32 v92, v92, v95
	v_add_f32_e32 v93, v93, v96
	v_sub_f32_e32 v91, v91, v87
	v_sub_f32_e32 v85, v85, v88
	;; [unrolled: 1-line block ×4, first 2 shown]
	v_add_f32_e32 v87, v99, v87
	v_add_f32_e32 v88, v100, v88
	;; [unrolled: 1-line block ×4, first 2 shown]
	v_mul_f32_e32 v59, 0x3f4a47b2, v59
	v_mul_f32_e32 v86, 0x3f4a47b2, v86
	;; [unrolled: 1-line block ×8, first 2 shown]
	v_fmamk_f32 v92, v92, 0xbf955555, v0
	v_fmamk_f32 v93, v93, 0xbf955555, v1
	v_fmamk_f32 v89, v89, 0x3d64c772, v59
	v_fmamk_f32 v90, v90, 0x3d64c772, v86
	v_fma_f32 v95, 0x3f3bfb3b, v97, -v95
	v_fma_f32 v96, 0x3f3bfb3b, v98, -v96
	;; [unrolled: 1-line block ×4, first 2 shown]
	v_fmamk_f32 v97, v94, 0xbeae86e6, v99
	v_fmamk_f32 v98, v58, 0xbeae86e6, v100
	v_fma_f32 v91, 0xbf5ff5aa, v91, -v99
	v_fma_f32 v99, 0xbf5ff5aa, v85, -v100
	;; [unrolled: 1-line block ×4, first 2 shown]
	s_barrier
	buffer_gl0_inv
	ds_write2_b64 v84, v[4:5], v[6:7] offset1:56
	ds_write2_b64 v84, v[8:9], v[10:11] offset0:112 offset1:168
	ds_write2_b64 v63, v[12:13], v[14:15] offset0:96 offset1:152
	;; [unrolled: 1-line block ×3, first 2 shown]
	v_add_nc_u32_e32 v2, 0x1800, v83
	v_lshl_add_u32 v3, v82, 3, 0
	v_add_nc_u32_e32 v4, 0x1c00, v83
	v_mov_b32_e32 v82, v73
	v_add_f32_e32 v101, v89, v92
	v_add_f32_e32 v102, v90, v93
	v_fmac_f32_e32 v97, 0xbee1c552, v87
	v_fmac_f32_e32 v98, 0xbee1c552, v88
	v_lshl_add_u32 v6, v75, 3, 0
	v_add_f32_e32 v89, v95, v92
	v_add_f32_e32 v90, v96, v93
	;; [unrolled: 1-line block ×4, first 2 shown]
	v_fmac_f32_e32 v91, 0xbee1c552, v87
	v_fmac_f32_e32 v100, 0xbee1c552, v88
	;; [unrolled: 1-line block ×4, first 2 shown]
	ds_write2_b64 v64, v[18:19], v[20:21] offset0:192 offset1:248
	ds_write2_b64 v60, v[22:23], v[24:25] offset0:48 offset1:104
	;; [unrolled: 1-line block ×5, first 2 shown]
	v_add_nc_u32_e32 v2, 0x2000, v3
	v_add_nc_u32_e32 v5, 0x2800, v3
	ds_write2_b64 v4, v[38:39], v[40:41] offset0:112 offset1:168
	ds_write_b64 v83, v[42:43] offset:8960
	ds_write2_b64 v2, v[44:45], v[46:47] offset0:152 offset1:208
	ds_write2_b64 v5, v[48:49], v[50:51] offset0:8 offset1:64
	ds_write_b64 v3, v[56:57] offset:12096
	v_lshlrev_b64 v[2:3], 3, v[81:82]
	v_add_f32_e32 v58, v98, v101
	v_sub_f32_e32 v59, v102, v97
	v_add_nc_u32_e32 v4, 0x3000, v6
	v_add_f32_e32 v85, v100, v92
	v_sub_f32_e32 v86, v93, v94
	v_sub_f32_e32 v87, v89, v99
	v_add_f32_e32 v88, v91, v90
	v_add_f32_e32 v89, v99, v89
	v_sub_f32_e32 v90, v90, v91
	v_sub_f32_e32 v91, v92, v100
	v_add_f32_e32 v92, v94, v93
	ds_write2_b64 v5, v[52:53], v[54:55] offset0:120 offset1:176
	v_add_nc_u32_e32 v5, 0x3800, v6
	v_sub_f32_e32 v93, v101, v98
	v_add_f32_e32 v94, v97, v102
	ds_write2_b64 v4, v[0:1], v[58:59] offset0:32 offset1:88
	ds_write2_b64 v4, v[85:86], v[87:88] offset0:144 offset1:200
	ds_write2_b64 v5, v[89:90], v[91:92] offset1:56
	ds_write_b64 v6, v[93:94] offset:15232
	v_add_co_u32 v4, s0, s8, v2
	v_add_co_ci_u32_e64 v5, s0, s9, v3, s0
	v_mov_b32_e32 v81, v73
	v_add_co_u32 v0, s0, 0x800, v4
	v_add_co_ci_u32_e64 v1, s0, 0, v5, s0
	v_lshlrev_b64 v[2:3], 3, v[80:81]
	s_waitcnt lgkmcnt(0)
	s_barrier
	buffer_gl0_inv
	global_load_dwordx4 v[16:19], v[0:1], off offset:1056
	v_add_co_u32 v0, s0, 0xc20, v4
	v_add_co_ci_u32_e64 v1, s0, 0, v5, s0
	v_add_co_u32 v2, s0, s8, v2
	v_mov_b32_e32 v80, v73
	v_add_co_ci_u32_e64 v3, s0, s9, v3, s0
	global_load_dwordx4 v[20:23], v[0:1], off offset:16
	v_add_co_u32 v0, s0, 0x800, v2
	v_lshlrev_b64 v[4:5], 3, v[79:80]
	v_add_co_ci_u32_e64 v1, s0, 0, v3, s0
	v_add_co_u32 v2, s0, 0xc20, v2
	v_add_co_ci_u32_e64 v3, s0, 0, v3, s0
	v_add_co_u32 v4, s0, s8, v4
	v_mov_b32_e32 v79, v73
	v_add_co_ci_u32_e64 v5, s0, s9, v5, s0
	s_clause 0x1
	global_load_dwordx4 v[24:27], v[0:1], off offset:1056
	global_load_dwordx4 v[28:31], v[2:3], off offset:16
	v_add_co_u32 v0, s0, 0x800, v4
	v_lshlrev_b64 v[2:3], 3, v[78:79]
	v_add_co_ci_u32_e64 v1, s0, 0, v5, s0
	v_add_co_u32 v4, s0, 0xc20, v4
	v_add_co_ci_u32_e64 v5, s0, 0, v5, s0
	v_add_co_u32 v2, s0, s8, v2
	v_mov_b32_e32 v78, v73
	v_add_co_ci_u32_e64 v3, s0, s9, v3, s0
	s_clause 0x1
	global_load_dwordx4 v[32:35], v[0:1], off offset:1056
	;; [unrolled: 11-line block ×3, first 2 shown]
	global_load_dwordx4 v[44:47], v[2:3], off offset:16
	v_add_co_u32 v0, s0, 0x800, v4
	v_lshlrev_b64 v[2:3], 3, v[74:75]
	v_add_co_ci_u32_e64 v1, s0, 0, v5, s0
	v_add_co_u32 v4, s0, 0xc20, v4
	v_add_co_ci_u32_e64 v5, s0, 0, v5, s0
	v_add_co_u32 v2, s0, s8, v2
	v_add_co_ci_u32_e64 v3, s0, s9, v3, s0
	s_clause 0x1
	global_load_dwordx4 v[48:51], v[0:1], off offset:1056
	global_load_dwordx4 v[77:80], v[4:5], off offset:16
	v_add_co_u32 v0, s0, 0x800, v2
	v_add_co_ci_u32_e64 v1, s0, 0, v3, s0
	v_add_co_u32 v2, s0, 0xc20, v2
	v_add_co_ci_u32_e64 v3, s0, 0, v3, s0
	global_load_dwordx4 v[85:88], v[0:1], off offset:1056
	v_lshlrev_b64 v[0:1], 3, v[72:73]
	global_load_dwordx4 v[89:92], v[2:3], off offset:16
	v_add_co_u32 v4, s0, s8, v0
	v_add_co_ci_u32_e64 v5, s0, s9, v1, s0
	v_add_co_u32 v0, s0, 0x800, v4
	v_add_co_ci_u32_e64 v1, s0, 0, v5, s0
	global_load_dwordx4 v[93:96], v[0:1], off offset:1056
	v_add_co_u32 v0, s0, 0xc20, v4
	v_add_co_ci_u32_e64 v1, s0, 0, v5, s0
	global_load_dwordx4 v[97:100], v[0:1], off offset:16
	ds_read2_b64 v[0:3], v64 offset0:80 offset1:136
	ds_read2_b64 v[52:55], v65 offset0:16 offset1:72
	;; [unrolled: 1-line block ×4, first 2 shown]
	ds_read2_b64 v[12:15], v84 offset1:56
	ds_read2_b64 v[72:75], v64 offset0:192 offset1:248
	ds_read2_b64 v[105:108], v67 offset0:80 offset1:136
	;; [unrolled: 1-line block ×9, first 2 shown]
	s_waitcnt vmcnt(13) lgkmcnt(13)
	v_mul_f32_e32 v81, v17, v3
	v_mul_f32_e32 v17, v17, v2
	s_waitcnt lgkmcnt(12)
	v_mul_f32_e32 v83, v19, v53
	v_fmac_f32_e32 v81, v16, v2
	v_fma_f32 v82, v16, v3, -v17
	v_mul_f32_e32 v2, v19, v52
	v_fmac_f32_e32 v83, v18, v52
	s_waitcnt vmcnt(12) lgkmcnt(11)
	v_mul_f32_e32 v129, v104, v21
	v_mul_f32_e32 v3, v103, v21
	v_fma_f32 v131, v18, v53, -v2
	s_waitcnt lgkmcnt(10)
	v_mul_f32_e32 v2, v56, v23
	ds_read2_b64 v[16:19], v69 offset1:56
	v_fmac_f32_e32 v129, v103, v20
	v_fma_f32 v103, v104, v20, -v3
	v_mul_f32_e32 v130, v57, v23
	v_fma_f32 v133, v57, v22, -v2
	v_fmac_f32_e32 v130, v56, v22
	s_waitcnt vmcnt(11) lgkmcnt(9)
	v_mul_f32_e32 v3, v72, v25
	s_waitcnt vmcnt(10)
	v_mul_f32_e32 v136, v59, v31
	v_mul_f32_e32 v2, v58, v31
	s_waitcnt lgkmcnt(8)
	v_mul_f32_e32 v31, v106, v29
	v_mul_f32_e32 v104, v73, v25
	v_fma_f32 v134, v73, v24, -v3
	v_mul_f32_e32 v3, v105, v29
	v_mul_f32_e32 v132, v55, v27
	;; [unrolled: 1-line block ×3, first 2 shown]
	v_fmac_f32_e32 v136, v58, v30
	v_fma_f32 v30, v59, v30, -v2
	v_fmac_f32_e32 v31, v105, v28
	v_fma_f32 v105, v106, v28, -v3
	v_fmac_f32_e32 v104, v72, v24
	v_fmac_f32_e32 v132, v54, v26
	v_fma_f32 v135, v55, v26, -v20
	s_waitcnt vmcnt(9)
	v_mul_f32_e32 v137, v75, v33
	v_mul_f32_e32 v2, v74, v33
	s_waitcnt lgkmcnt(6)
	v_mul_f32_e32 v3, v109, v35
	ds_read2_b64 v[24:27], v61 offset0:176 offset1:232
	s_waitcnt vmcnt(8) lgkmcnt(6)
	v_mul_f32_e32 v33, v114, v39
	v_fmac_f32_e32 v137, v74, v32
	v_mul_f32_e32 v74, v110, v35
	v_fma_f32 v75, v75, v32, -v2
	v_mul_f32_e32 v35, v108, v37
	v_mul_f32_e32 v2, v107, v37
	v_fma_f32 v106, v110, v34, -v3
	ds_read2_b64 v[20:23], v60 offset0:160 offset1:216
	v_fmac_f32_e32 v33, v113, v38
	v_fmac_f32_e32 v35, v107, v36
	v_fma_f32 v107, v108, v36, -v2
	s_waitcnt vmcnt(7) lgkmcnt(6)
	v_mul_f32_e32 v3, v117, v41
	v_mul_f32_e32 v2, v113, v39
	v_mul_f32_e32 v108, v118, v41
	v_fmac_f32_e32 v74, v109, v34
	v_mul_f32_e32 v109, v112, v43
	v_fma_f32 v113, v118, v40, -v3
	s_waitcnt vmcnt(6) lgkmcnt(5)
	v_mul_f32_e32 v3, v121, v45
	v_fma_f32 v110, v114, v38, -v2
	v_fmac_f32_e32 v108, v117, v40
	v_mul_f32_e32 v2, v111, v43
	ds_read_b64 v[28:29], v84 offset:15232
	v_fma_f32 v117, v122, v44, -v3
	v_mul_f32_e32 v114, v116, v47
	v_mul_f32_e32 v32, v115, v47
	v_fma_f32 v112, v112, v42, -v2
	s_waitcnt vmcnt(5) lgkmcnt(4)
	v_mul_f32_e32 v3, v125, v51
	v_mul_f32_e32 v2, v119, v49
	;; [unrolled: 1-line block ×3, first 2 shown]
	s_waitcnt vmcnt(4) lgkmcnt(3)
	v_mul_f32_e32 v73, v17, v80
	v_fmac_f32_e32 v109, v111, v42
	v_fma_f32 v55, v126, v50, -v3
	v_mul_f32_e32 v3, v16, v80
	v_fma_f32 v54, v120, v48, -v2
	v_mul_f32_e32 v2, v123, v78
	v_fmac_f32_e32 v72, v119, v48
	v_fmac_f32_e32 v114, v115, v46
	v_fma_f32 v59, v17, v79, -v3
	v_add_f32_e32 v17, v12, v81
	s_waitcnt vmcnt(2) lgkmcnt(2)
	v_mul_f32_e32 v3, v24, v90
	v_fma_f32 v57, v124, v77, -v2
	v_mul_f32_e32 v2, v127, v88
	v_fma_f32 v115, v116, v46, -v32
	;; [unrolled: 2-line block ×3, first 2 shown]
	s_waitcnt lgkmcnt(1)
	v_mul_f32_e32 v52, v21, v86
	v_fma_f32 v47, v128, v87, -v2
	v_mul_f32_e32 v2, v18, v92
	v_mul_f32_e32 v32, v20, v86
	v_fmac_f32_e32 v73, v16, v79
	v_mul_f32_e32 v53, v19, v92
	v_mul_f32_e32 v111, v122, v45
	v_fma_f32 v51, v19, v91, -v2
	v_add_f32_e32 v2, v83, v129
	v_fmac_f32_e32 v56, v125, v50
	s_waitcnt vmcnt(1)
	v_mul_f32_e32 v3, v22, v94
	v_mul_f32_e32 v41, v23, v94
	;; [unrolled: 1-line block ×3, first 2 shown]
	v_fmac_f32_e32 v52, v20, v85
	v_fma_f32 v46, v21, v85, -v32
	v_fma_f32 v38, v23, v93, -v3
	v_mul_f32_e32 v50, v25, v90
	v_fmac_f32_e32 v53, v18, v91
	s_waitcnt vmcnt(0)
	v_mul_f32_e32 v3, v26, v98
	v_fmac_f32_e32 v41, v22, v93
	v_fma_f32 v39, v102, v95, -v16
	v_fma_f32 v16, -0.5, v2, v12
	v_sub_f32_e32 v19, v82, v133
	v_fma_f32 v42, v27, v97, -v3
	v_add_f32_e32 v3, v17, v83
	v_sub_f32_e32 v18, v81, v83
	v_sub_f32_e32 v20, v130, v129
	v_add_f32_e32 v21, v81, v130
	s_waitcnt lgkmcnt(0)
	v_mul_f32_e32 v22, v28, v100
	v_add_f32_e32 v3, v3, v129
	v_fmac_f32_e32 v111, v121, v44
	v_fmac_f32_e32 v50, v24, v89
	v_mul_f32_e32 v43, v27, v98
	v_fmamk_f32 v2, v19, 0xbf737871, v16
	v_sub_f32_e32 v17, v131, v103
	v_add_f32_e32 v23, v18, v20
	v_fma_f32 v12, -0.5, v21, v12
	v_fma_f32 v44, v29, v99, -v22
	v_add_f32_e32 v20, v3, v130
	v_fmac_f32_e32 v16, 0x3f737871, v19
	v_sub_f32_e32 v3, v83, v81
	v_sub_f32_e32 v21, v129, v130
	v_add_f32_e32 v22, v13, v82
	v_add_f32_e32 v24, v131, v103
	v_mul_f32_e32 v45, v29, v100
	v_fmac_f32_e32 v43, v26, v97
	v_fmac_f32_e32 v2, 0xbf167918, v17
	v_fmamk_f32 v18, v17, 0x3f737871, v12
	v_fmac_f32_e32 v16, 0x3f167918, v17
	v_add_f32_e32 v21, v3, v21
	v_fmac_f32_e32 v12, 0xbf737871, v17
	v_add_f32_e32 v3, v22, v131
	v_fma_f32 v17, -0.5, v24, v13
	v_sub_f32_e32 v25, v81, v130
	v_add_f32_e32 v22, v82, v133
	v_sub_f32_e32 v24, v82, v131
	v_sub_f32_e32 v26, v133, v103
	v_fmac_f32_e32 v45, v28, v99
	v_fmac_f32_e32 v2, 0x3e9e377a, v23
	;; [unrolled: 1-line block ×5, first 2 shown]
	v_add_f32_e32 v19, v3, v103
	v_fmamk_f32 v3, v25, 0x3f737871, v17
	v_sub_f32_e32 v23, v83, v129
	v_fma_f32 v13, -0.5, v22, v13
	v_add_f32_e32 v24, v24, v26
	v_fmac_f32_e32 v17, 0xbf737871, v25
	v_sub_f32_e32 v22, v131, v82
	v_sub_f32_e32 v26, v103, v133
	v_add_f32_e32 v27, v132, v31
	v_add_f32_e32 v28, v14, v104
	v_fmac_f32_e32 v18, 0x3e9e377a, v21
	v_fmac_f32_e32 v12, 0x3e9e377a, v21
	v_add_f32_e32 v21, v19, v133
	v_fmac_f32_e32 v3, 0x3f167918, v23
	v_fmamk_f32 v19, v23, 0xbf737871, v13
	v_fmac_f32_e32 v17, 0xbf167918, v23
	v_add_f32_e32 v26, v22, v26
	v_fma_f32 v22, -0.5, v27, v14
	v_sub_f32_e32 v27, v134, v30
	v_fmac_f32_e32 v13, 0x3f737871, v23
	v_add_f32_e32 v23, v28, v132
	v_add_f32_e32 v34, v104, v136
	v_fmac_f32_e32 v3, 0x3e9e377a, v24
	v_fmac_f32_e32 v19, 0x3f167918, v25
	;; [unrolled: 1-line block ×3, first 2 shown]
	v_fmamk_f32 v24, v27, 0xbf737871, v22
	v_sub_f32_e32 v29, v135, v105
	v_sub_f32_e32 v28, v104, v132
	;; [unrolled: 1-line block ×3, first 2 shown]
	v_fmac_f32_e32 v13, 0xbf167918, v25
	v_add_f32_e32 v23, v23, v31
	v_fma_f32 v14, -0.5, v34, v14
	v_fmac_f32_e32 v22, 0x3f737871, v27
	v_add_f32_e32 v34, v15, v134
	v_fmac_f32_e32 v19, 0x3e9e377a, v26
	v_fmac_f32_e32 v24, 0xbf167918, v29
	v_add_f32_e32 v25, v28, v32
	v_fmac_f32_e32 v13, 0x3e9e377a, v26
	v_add_f32_e32 v28, v23, v136
	v_fmamk_f32 v26, v29, 0x3f737871, v14
	v_sub_f32_e32 v23, v132, v104
	v_sub_f32_e32 v32, v31, v136
	v_fmac_f32_e32 v22, 0x3f167918, v29
	v_add_f32_e32 v36, v135, v105
	v_fmac_f32_e32 v14, 0xbf737871, v29
	v_add_f32_e32 v29, v34, v135
	;; [unrolled: 2-line block ×3, first 2 shown]
	v_fma_f32 v23, -0.5, v36, v15
	v_fmac_f32_e32 v14, 0x3f167918, v27
	v_add_f32_e32 v27, v29, v105
	v_add_f32_e32 v29, v134, v30
	v_sub_f32_e32 v36, v134, v135
	v_sub_f32_e32 v37, v30, v105
	v_mul_f32_e32 v58, v124, v78
	v_sub_f32_e32 v34, v104, v136
	v_fmac_f32_e32 v26, 0x3e9e377a, v32
	v_fmac_f32_e32 v14, 0x3e9e377a, v32
	v_fmac_f32_e32 v15, -0.5, v29
	v_add_f32_e32 v29, v27, v30
	v_add_f32_e32 v32, v36, v37
	v_sub_f32_e32 v36, v135, v134
	v_sub_f32_e32 v30, v105, v30
	v_fmac_f32_e32 v58, v123, v77
	v_fmac_f32_e32 v24, 0x3e9e377a, v25
	;; [unrolled: 1-line block ×3, first 2 shown]
	v_fmamk_f32 v25, v34, 0x3f737871, v23
	v_sub_f32_e32 v31, v132, v31
	v_fmac_f32_e32 v23, 0xbf737871, v34
	v_add_f32_e32 v77, v36, v30
	v_add_f32_e32 v36, v8, v137
	;; [unrolled: 1-line block ×3, first 2 shown]
	v_fmac_f32_e32 v25, 0x3f167918, v31
	v_fmamk_f32 v27, v31, 0xbf737871, v15
	v_fmac_f32_e32 v23, 0xbf167918, v31
	v_fmac_f32_e32 v15, 0x3f737871, v31
	v_add_f32_e32 v31, v36, v74
	v_sub_f32_e32 v36, v137, v74
	v_sub_f32_e32 v79, v33, v35
	v_add_f32_e32 v80, v137, v33
	v_fma_f32 v30, -0.5, v37, v8
	v_sub_f32_e32 v37, v75, v110
	v_sub_f32_e32 v78, v106, v107
	v_add_f32_e32 v79, v36, v79
	v_fma_f32 v36, -0.5, v80, v8
	v_fmac_f32_e32 v25, 0x3e9e377a, v32
	v_fmac_f32_e32 v27, 0x3f167918, v34
	;; [unrolled: 1-line block ×3, first 2 shown]
	v_fmamk_f32 v32, v37, 0xbf737871, v30
	v_fmac_f32_e32 v15, 0xbf167918, v34
	v_add_f32_e32 v31, v31, v35
	v_fmac_f32_e32 v30, 0x3f737871, v37
	v_fmamk_f32 v8, v78, 0x3f737871, v36
	v_add_f32_e32 v80, v9, v75
	v_fmac_f32_e32 v36, 0xbf737871, v78
	v_fmac_f32_e32 v27, 0x3e9e377a, v77
	;; [unrolled: 1-line block ×4, first 2 shown]
	v_add_f32_e32 v34, v31, v33
	v_sub_f32_e32 v31, v74, v137
	v_sub_f32_e32 v77, v35, v33
	v_fmac_f32_e32 v30, 0x3f167918, v78
	v_add_f32_e32 v81, v106, v107
	v_fmac_f32_e32 v8, 0xbf167918, v37
	v_add_f32_e32 v78, v80, v106
	;; [unrolled: 2-line block ×4, first 2 shown]
	v_fma_f32 v31, -0.5, v81, v9
	v_sub_f32_e32 v80, v137, v33
	v_fmac_f32_e32 v30, 0x3e9e377a, v79
	v_add_f32_e32 v78, v78, v107
	v_sub_f32_e32 v79, v74, v35
	v_sub_f32_e32 v74, v75, v106
	;; [unrolled: 1-line block ×3, first 2 shown]
	v_fma_f32 v37, -0.5, v37, v9
	v_fmac_f32_e32 v8, 0x3e9e377a, v77
	v_fmamk_f32 v33, v80, 0x3f737871, v31
	v_fmac_f32_e32 v36, 0x3e9e377a, v77
	v_add_f32_e32 v35, v78, v110
	v_add_f32_e32 v77, v74, v81
	v_fmac_f32_e32 v31, 0xbf737871, v80
	v_fmamk_f32 v9, v79, 0xbf737871, v37
	v_sub_f32_e32 v74, v106, v75
	v_sub_f32_e32 v75, v107, v110
	v_add_f32_e32 v78, v109, v111
	v_add_f32_e32 v81, v10, v108
	v_fmac_f32_e32 v37, 0x3f737871, v79
	v_fmac_f32_e32 v33, 0x3f167918, v79
	v_fmac_f32_e32 v31, 0xbf167918, v79
	v_fmac_f32_e32 v9, 0x3f167918, v80
	v_add_f32_e32 v75, v74, v75
	v_fma_f32 v74, -0.5, v78, v10
	v_sub_f32_e32 v78, v113, v115
	v_add_f32_e32 v79, v81, v109
	v_sub_f32_e32 v81, v108, v109
	v_sub_f32_e32 v83, v114, v111
	v_add_f32_e32 v85, v108, v114
	v_fmac_f32_e32 v37, 0xbf167918, v80
	v_fmac_f32_e32 v33, 0x3e9e377a, v77
	;; [unrolled: 1-line block ×4, first 2 shown]
	v_fmamk_f32 v77, v78, 0xbf737871, v74
	v_sub_f32_e32 v82, v112, v117
	v_add_f32_e32 v80, v81, v83
	v_fma_f32 v10, -0.5, v85, v10
	v_fmac_f32_e32 v37, 0x3e9e377a, v75
	v_fmac_f32_e32 v74, 0x3f737871, v78
	v_sub_f32_e32 v75, v109, v108
	v_sub_f32_e32 v83, v111, v114
	v_add_f32_e32 v85, v11, v113
	v_add_f32_e32 v86, v112, v117
	v_mul_f32_e32 v49, v128, v88
	v_fmac_f32_e32 v77, 0xbf167918, v82
	v_fmamk_f32 v81, v82, 0x3f737871, v10
	v_fmac_f32_e32 v74, 0x3f167918, v82
	v_add_f32_e32 v83, v75, v83
	v_fmac_f32_e32 v10, 0xbf737871, v82
	v_add_f32_e32 v82, v85, v112
	v_fma_f32 v75, -0.5, v86, v11
	v_sub_f32_e32 v86, v108, v114
	v_fmac_f32_e32 v49, v127, v87
	v_fmac_f32_e32 v77, 0x3e9e377a, v80
	;; [unrolled: 1-line block ×5, first 2 shown]
	v_add_f32_e32 v80, v82, v117
	v_fmamk_f32 v78, v86, 0x3f737871, v75
	v_add_f32_e32 v82, v113, v115
	v_sub_f32_e32 v87, v109, v111
	v_sub_f32_e32 v85, v113, v112
	;; [unrolled: 1-line block ×3, first 2 shown]
	v_fmac_f32_e32 v75, 0xbf737871, v86
	v_fmac_f32_e32 v81, 0x3e9e377a, v83
	;; [unrolled: 1-line block ×3, first 2 shown]
	v_fmac_f32_e32 v11, -0.5, v82
	v_fmac_f32_e32 v78, 0x3f167918, v87
	v_add_f32_e32 v83, v85, v88
	v_fmac_f32_e32 v75, 0xbf167918, v87
	v_add_f32_e32 v90, v4, v72
	v_fmamk_f32 v82, v87, 0xbf737871, v11
	v_sub_f32_e32 v85, v112, v113
	v_sub_f32_e32 v88, v117, v115
	v_fmac_f32_e32 v78, 0x3e9e377a, v83
	v_add_f32_e32 v89, v56, v58
	v_fmac_f32_e32 v75, 0x3e9e377a, v83
	v_fmac_f32_e32 v11, 0x3f737871, v87
	v_add_f32_e32 v83, v90, v56
	v_fmac_f32_e32 v82, 0x3f167918, v86
	v_add_f32_e32 v88, v85, v88
	v_fma_f32 v85, -0.5, v89, v4
	v_sub_f32_e32 v92, v54, v59
	v_sub_f32_e32 v89, v72, v56
	;; [unrolled: 1-line block ×3, first 2 shown]
	v_add_f32_e32 v93, v72, v73
	v_fmac_f32_e32 v11, 0xbf167918, v86
	v_add_f32_e32 v83, v83, v58
	v_fmac_f32_e32 v82, 0x3e9e377a, v88
	v_fmamk_f32 v87, v92, 0xbf737871, v85
	v_sub_f32_e32 v90, v55, v57
	v_add_f32_e32 v94, v89, v91
	v_fma_f32 v4, -0.5, v93, v4
	v_fmac_f32_e32 v11, 0x3e9e377a, v88
	v_add_f32_e32 v89, v83, v73
	v_fmac_f32_e32 v85, 0x3f737871, v92
	v_sub_f32_e32 v83, v56, v72
	v_sub_f32_e32 v86, v58, v73
	v_add_f32_e32 v88, v5, v54
	v_add_f32_e32 v93, v55, v57
	v_fmac_f32_e32 v87, 0xbf167918, v90
	v_fmamk_f32 v91, v90, 0x3f737871, v4
	v_fmac_f32_e32 v85, 0x3f167918, v90
	v_add_f32_e32 v83, v83, v86
	v_fmac_f32_e32 v4, 0xbf737871, v90
	v_add_f32_e32 v88, v88, v55
	v_fma_f32 v86, -0.5, v93, v5
	v_sub_f32_e32 v72, v72, v73
	v_add_f32_e32 v90, v54, v59
	v_fmac_f32_e32 v91, 0xbf167918, v92
	v_fmac_f32_e32 v4, 0x3f167918, v92
	v_add_f32_e32 v73, v88, v57
	v_fmamk_f32 v88, v72, 0x3f737871, v86
	v_sub_f32_e32 v56, v56, v58
	v_sub_f32_e32 v58, v54, v55
	;; [unrolled: 1-line block ×3, first 2 shown]
	v_fma_f32 v5, -0.5, v90, v5
	v_fmac_f32_e32 v86, 0xbf737871, v72
	v_sub_f32_e32 v54, v55, v54
	v_sub_f32_e32 v55, v57, v59
	v_add_f32_e32 v57, v49, v50
	v_add_f32_e32 v90, v73, v59
	v_fmac_f32_e32 v88, 0x3f167918, v56
	v_add_f32_e32 v58, v58, v92
	v_fmamk_f32 v92, v56, 0xbf737871, v5
	v_fmac_f32_e32 v86, 0xbf167918, v56
	v_add_f32_e32 v55, v54, v55
	v_add_f32_e32 v59, v6, v52
	v_fma_f32 v54, -0.5, v57, v6
	v_sub_f32_e32 v57, v46, v51
	v_fmac_f32_e32 v5, 0x3f737871, v56
	v_add_f32_e32 v93, v52, v53
	v_fmac_f32_e32 v91, 0x3e9e377a, v83
	v_fmac_f32_e32 v4, 0x3e9e377a, v83
	;; [unrolled: 1-line block ×5, first 2 shown]
	v_add_f32_e32 v58, v59, v49
	v_fmamk_f32 v56, v57, 0xbf737871, v54
	v_sub_f32_e32 v59, v47, v48
	v_sub_f32_e32 v73, v52, v49
	;; [unrolled: 1-line block ×3, first 2 shown]
	v_fmac_f32_e32 v5, 0xbf167918, v72
	v_fma_f32 v6, -0.5, v93, v6
	v_fmac_f32_e32 v54, 0x3f737871, v57
	v_add_f32_e32 v93, v7, v46
	v_mul_f32_e32 v40, v102, v96
	v_fmac_f32_e32 v87, 0x3e9e377a, v94
	v_fmac_f32_e32 v85, 0x3e9e377a, v94
	;; [unrolled: 1-line block ×3, first 2 shown]
	v_add_f32_e32 v58, v58, v50
	v_fmac_f32_e32 v56, 0xbf167918, v59
	v_add_f32_e32 v73, v73, v83
	v_fmac_f32_e32 v5, 0x3e9e377a, v55
	v_fmamk_f32 v72, v59, 0x3f737871, v6
	v_sub_f32_e32 v55, v49, v52
	v_sub_f32_e32 v83, v50, v53
	v_fmac_f32_e32 v54, 0x3f167918, v59
	v_add_f32_e32 v94, v47, v48
	v_fmac_f32_e32 v6, 0xbf737871, v59
	v_add_f32_e32 v59, v93, v47
	;; [unrolled: 2-line block ×3, first 2 shown]
	v_add_f32_e32 v83, v55, v83
	v_fma_f32 v55, -0.5, v94, v7
	v_sub_f32_e32 v52, v52, v53
	v_add_f32_e32 v53, v59, v48
	v_add_f32_e32 v59, v46, v51
	v_fmac_f32_e32 v56, 0x3e9e377a, v73
	v_fmac_f32_e32 v72, 0xbf167918, v57
	;; [unrolled: 1-line block ×4, first 2 shown]
	v_fmamk_f32 v57, v52, 0x3f737871, v55
	v_sub_f32_e32 v49, v49, v50
	v_sub_f32_e32 v50, v46, v47
	;; [unrolled: 1-line block ×3, first 2 shown]
	v_fmac_f32_e32 v7, -0.5, v59
	v_fmac_f32_e32 v55, 0xbf737871, v52
	v_sub_f32_e32 v46, v47, v46
	v_sub_f32_e32 v47, v48, v51
	v_add_f32_e32 v48, v40, v43
	v_add_f32_e32 v59, v53, v51
	v_fmac_f32_e32 v57, 0x3f167918, v49
	v_add_f32_e32 v50, v50, v73
	v_fmamk_f32 v73, v49, 0xbf737871, v7
	v_fmac_f32_e32 v55, 0xbf167918, v49
	v_add_f32_e32 v47, v46, v47
	v_fmac_f32_e32 v7, 0x3f737871, v49
	v_fma_f32 v46, -0.5, v48, v0
	v_sub_f32_e32 v51, v38, v44
	v_fmac_f32_e32 v72, 0x3e9e377a, v83
	v_fmac_f32_e32 v6, 0x3e9e377a, v83
	;; [unrolled: 1-line block ×4, first 2 shown]
	v_add_f32_e32 v49, v0, v41
	v_fmac_f32_e32 v55, 0x3e9e377a, v50
	v_fmac_f32_e32 v7, 0xbf167918, v52
	v_fmamk_f32 v48, v51, 0xbf737871, v46
	v_sub_f32_e32 v53, v39, v42
	v_sub_f32_e32 v50, v41, v40
	;; [unrolled: 1-line block ×3, first 2 shown]
	v_fmac_f32_e32 v46, 0x3f737871, v51
	v_add_f32_e32 v83, v41, v45
	v_add_f32_e32 v49, v49, v40
	v_fmac_f32_e32 v48, 0xbf167918, v53
	v_add_f32_e32 v52, v50, v52
	v_fmac_f32_e32 v46, 0x3f167918, v53
	v_fma_f32 v0, -0.5, v83, v0
	v_add_f32_e32 v49, v49, v43
	v_fmac_f32_e32 v73, 0x3e9e377a, v47
	v_fmac_f32_e32 v48, 0x3e9e377a, v52
	;; [unrolled: 1-line block ×3, first 2 shown]
	v_fmamk_f32 v52, v53, 0x3f737871, v0
	v_fmac_f32_e32 v0, 0xbf737871, v53
	v_add_f32_e32 v53, v1, v38
	v_fmac_f32_e32 v7, 0x3e9e377a, v47
	v_add_f32_e32 v50, v49, v45
	v_add_f32_e32 v47, v39, v42
	v_sub_f32_e32 v49, v40, v41
	v_sub_f32_e32 v83, v43, v45
	v_fmac_f32_e32 v52, 0xbf167918, v51
	v_fmac_f32_e32 v0, 0x3f167918, v51
	v_add_f32_e32 v51, v53, v39
	v_add_f32_e32 v53, v38, v44
	v_fma_f32 v47, -0.5, v47, v1
	v_sub_f32_e32 v41, v41, v45
	v_add_f32_e32 v45, v49, v83
	v_sub_f32_e32 v40, v40, v43
	v_fmac_f32_e32 v1, -0.5, v53
	v_add_f32_e32 v43, v51, v42
	v_fmamk_f32 v49, v41, 0x3f737871, v47
	v_fmac_f32_e32 v52, 0x3e9e377a, v45
	v_fmac_f32_e32 v0, 0x3e9e377a, v45
	v_sub_f32_e32 v45, v38, v39
	v_sub_f32_e32 v51, v44, v42
	v_fmac_f32_e32 v47, 0xbf737871, v41
	v_fmamk_f32 v53, v40, 0xbf737871, v1
	v_sub_f32_e32 v38, v39, v38
	v_sub_f32_e32 v39, v42, v44
	v_fmac_f32_e32 v1, 0x3f737871, v40
	v_add_f32_e32 v79, v79, v111
	v_fmac_f32_e32 v49, 0x3f167918, v40
	v_add_f32_e32 v42, v45, v51
	v_fmac_f32_e32 v47, 0xbf167918, v40
	v_fmac_f32_e32 v53, 0x3f167918, v41
	v_add_f32_e32 v38, v38, v39
	v_fmac_f32_e32 v1, 0xbf167918, v41
	v_add_f32_e32 v79, v79, v114
	v_add_f32_e32 v80, v80, v115
	;; [unrolled: 1-line block ×3, first 2 shown]
	v_fmac_f32_e32 v49, 0x3e9e377a, v42
	v_fmac_f32_e32 v47, 0x3e9e377a, v42
	v_fmac_f32_e32 v53, 0x3e9e377a, v38
	v_fmac_f32_e32 v1, 0x3e9e377a, v38
	s_barrier
	buffer_gl0_inv
	ds_write2_b64 v84, v[20:21], v[28:29] offset1:56
	ds_write2_b64 v65, v[18:19], v[26:27] offset0:16 offset1:72
	ds_write2_b64 v66, v[16:17], v[22:23] offset0:32 offset1:88
	;; [unrolled: 1-line block ×11, first 2 shown]
	ds_write2_b64 v69, v[85:86], v[54:55] offset1:56
	ds_write2_b64 v64, v[50:51], v[2:3] offset0:80 offset1:136
	ds_write2_b64 v60, v[56:57], v[48:49] offset0:160 offset1:216
	;; [unrolled: 1-line block ×4, first 2 shown]
	ds_write_b64 v84, v[46:47] offset:15232
	s_waitcnt lgkmcnt(0)
	s_barrier
	buffer_gl0_inv
	s_and_saveexec_b32 s0, vcc_lo
	s_cbranch_execz .LBB0_27
; %bb.26:
	v_lshl_add_u32 v22, v68, 3, 0
	v_mov_b32_e32 v69, 0
	v_add_nc_u32_e32 v8, 56, v68
	v_add_co_u32 v23, vcc_lo, s2, v70
	ds_read2_b64 v[0:3], v22 offset1:56
	v_lshlrev_b64 v[14:15], 3, v[68:69]
	v_mov_b32_e32 v9, v69
	v_add_co_ci_u32_e32 v24, vcc_lo, s3, v71, vcc_lo
	v_add_nc_u32_e32 v10, 0x70, v68
	v_mov_b32_e32 v11, v69
	v_lshlrev_b64 v[8:9], 3, v[8:9]
	v_add_co_u32 v14, vcc_lo, v23, v14
	v_add_nc_u32_e32 v18, 0x400, v22
	v_add_co_ci_u32_e32 v15, vcc_lo, v24, v15, vcc_lo
	ds_read2_b64 v[4:7], v22 offset0:112 offset1:168
	v_add_co_u32 v16, vcc_lo, v23, v8
	v_add_nc_u32_e32 v12, 0xa8, v68
	v_mov_b32_e32 v13, v69
	v_add_co_ci_u32_e32 v17, vcc_lo, v24, v9, vcc_lo
	s_waitcnt lgkmcnt(1)
	global_store_dwordx2 v[14:15], v[0:1], off
	v_lshlrev_b64 v[0:1], 3, v[10:11]
	ds_read2_b64 v[8:11], v18 offset0:96 offset1:152
	v_add_nc_u32_e32 v14, 0xe0, v68
	v_mov_b32_e32 v15, v69
	v_lshlrev_b64 v[12:13], 3, v[12:13]
	v_add_nc_u32_e32 v18, 0x118, v68
	v_add_co_u32 v0, vcc_lo, v23, v0
	v_lshlrev_b64 v[14:15], 3, v[14:15]
	v_add_co_ci_u32_e32 v1, vcc_lo, v24, v1, vcc_lo
	v_add_co_u32 v12, vcc_lo, v23, v12
	v_add_co_ci_u32_e32 v13, vcc_lo, v24, v13, vcc_lo
	v_mov_b32_e32 v19, v69
	v_add_co_u32 v14, vcc_lo, v23, v14
	v_add_co_ci_u32_e32 v15, vcc_lo, v24, v15, vcc_lo
	global_store_dwordx2 v[16:17], v[2:3], off
	s_waitcnt lgkmcnt(1)
	global_store_dwordx2 v[0:1], v[4:5], off
	global_store_dwordx2 v[12:13], v[6:7], off
	s_waitcnt lgkmcnt(0)
	global_store_dwordx2 v[14:15], v[8:9], off
	v_lshlrev_b64 v[0:1], 3, v[18:19]
	v_add_nc_u32_e32 v17, 0x800, v22
	v_add_nc_u32_e32 v4, 0x150, v68
	v_mov_b32_e32 v5, v69
	v_add_nc_u32_e32 v6, 0x188, v68
	v_mov_b32_e32 v7, v69
	v_add_co_u32 v8, vcc_lo, v23, v0
	v_add_co_ci_u32_e32 v9, vcc_lo, v24, v1, vcc_lo
	ds_read2_b64 v[0:3], v17 offset0:80 offset1:136
	v_lshlrev_b64 v[12:13], 3, v[4:5]
	v_lshlrev_b64 v[14:15], 3, v[6:7]
	ds_read2_b64 v[4:7], v17 offset0:192 offset1:248
	v_add_nc_u32_e32 v16, 0x1c0, v68
	v_mov_b32_e32 v17, v69
	v_add_nc_u32_e32 v18, 0x1f8, v68
	v_add_co_u32 v12, vcc_lo, v23, v12
	v_add_co_ci_u32_e32 v13, vcc_lo, v24, v13, vcc_lo
	v_lshlrev_b64 v[16:17], 3, v[16:17]
	v_add_co_u32 v14, vcc_lo, v23, v14
	v_add_co_ci_u32_e32 v15, vcc_lo, v24, v15, vcc_lo
	v_add_nc_u32_e32 v25, 0x2800, v22
	v_add_co_u32 v16, vcc_lo, v23, v16
	v_add_co_ci_u32_e32 v17, vcc_lo, v24, v17, vcc_lo
	global_store_dwordx2 v[8:9], v[10:11], off
	s_waitcnt lgkmcnt(1)
	global_store_dwordx2 v[12:13], v[0:1], off
	global_store_dwordx2 v[14:15], v[2:3], off
	s_waitcnt lgkmcnt(0)
	global_store_dwordx2 v[16:17], v[4:5], off
	v_lshlrev_b64 v[0:1], 3, v[18:19]
	v_add_nc_u32_e32 v10, 0x1000, v22
	v_add_nc_u32_e32 v8, 0x268, v68
	v_mov_b32_e32 v9, v69
	v_add_nc_u32_e32 v4, 0x230, v68
	v_mov_b32_e32 v5, v69
	v_add_co_u32 v12, vcc_lo, v23, v0
	v_add_co_ci_u32_e32 v13, vcc_lo, v24, v1, vcc_lo
	ds_read2_b64 v[0:3], v10 offset0:48 offset1:104
	v_lshlrev_b64 v[14:15], 3, v[8:9]
	ds_read2_b64 v[8:11], v10 offset0:160 offset1:216
	v_lshlrev_b64 v[4:5], 3, v[4:5]
	v_add_nc_u32_e32 v16, 0x2a0, v68
	v_mov_b32_e32 v17, v69
	v_add_nc_u32_e32 v18, 0x2d8, v68
	v_add_nc_u32_e32 v20, 0x5b0, v68
	v_mov_b32_e32 v21, v69
	v_add_co_u32 v4, vcc_lo, v23, v4
	v_lshlrev_b64 v[16:17], 3, v[16:17]
	v_add_co_ci_u32_e32 v5, vcc_lo, v24, v5, vcc_lo
	v_add_co_u32 v14, vcc_lo, v23, v14
	v_add_co_ci_u32_e32 v15, vcc_lo, v24, v15, vcc_lo
	v_add_co_u32 v16, vcc_lo, v23, v16
	v_add_co_ci_u32_e32 v17, vcc_lo, v24, v17, vcc_lo
	global_store_dwordx2 v[12:13], v[6:7], off
	s_waitcnt lgkmcnt(1)
	global_store_dwordx2 v[4:5], v[0:1], off
	global_store_dwordx2 v[14:15], v[2:3], off
	s_waitcnt lgkmcnt(0)
	global_store_dwordx2 v[16:17], v[8:9], off
	v_lshlrev_b64 v[0:1], 3, v[18:19]
	v_add_nc_u32_e32 v17, 0x1800, v22
	v_add_nc_u32_e32 v4, 0x310, v68
	v_mov_b32_e32 v5, v69
	v_add_nc_u32_e32 v6, 0x348, v68
	v_mov_b32_e32 v7, v69
	v_add_co_u32 v8, vcc_lo, v23, v0
	v_add_co_ci_u32_e32 v9, vcc_lo, v24, v1, vcc_lo
	ds_read2_b64 v[0:3], v17 offset0:16 offset1:72
	v_lshlrev_b64 v[12:13], 3, v[4:5]
	v_lshlrev_b64 v[14:15], 3, v[6:7]
	ds_read2_b64 v[4:7], v17 offset0:128 offset1:184
	v_add_nc_u32_e32 v16, 0x380, v68
	v_mov_b32_e32 v17, v69
	v_add_nc_u32_e32 v18, 0x3b8, v68
	v_add_co_u32 v12, vcc_lo, v23, v12
	v_add_co_ci_u32_e32 v13, vcc_lo, v24, v13, vcc_lo
	v_lshlrev_b64 v[16:17], 3, v[16:17]
	v_add_co_u32 v14, vcc_lo, v23, v14
	v_add_co_ci_u32_e32 v15, vcc_lo, v24, v15, vcc_lo
	v_add_co_u32 v16, vcc_lo, v23, v16
	v_add_co_ci_u32_e32 v17, vcc_lo, v24, v17, vcc_lo
	global_store_dwordx2 v[8:9], v[10:11], off
	s_waitcnt lgkmcnt(1)
	global_store_dwordx2 v[12:13], v[0:1], off
	global_store_dwordx2 v[14:15], v[2:3], off
	s_waitcnt lgkmcnt(0)
	global_store_dwordx2 v[16:17], v[4:5], off
	v_lshlrev_b64 v[0:1], 3, v[18:19]
	v_add_nc_u32_e32 v2, 0x1c00, v22
	v_add_nc_u32_e32 v8, 0x428, v68
	v_mov_b32_e32 v9, v69
	v_add_nc_u32_e32 v10, 0x2000, v22
	v_add_nc_u32_e32 v4, 0x3f0, v68
	v_mov_b32_e32 v5, v69
	v_add_co_u32 v12, vcc_lo, v23, v0
	v_add_co_ci_u32_e32 v13, vcc_lo, v24, v1, vcc_lo
	ds_read2_b64 v[0:3], v2 offset0:112 offset1:168
	v_lshlrev_b64 v[14:15], 3, v[8:9]
	ds_read2_b64 v[8:11], v10 offset0:96 offset1:152
	v_lshlrev_b64 v[4:5], 3, v[4:5]
	v_add_nc_u32_e32 v16, 0x460, v68
	v_mov_b32_e32 v17, v69
	v_add_nc_u32_e32 v18, 0x498, v68
	v_add_co_u32 v4, vcc_lo, v23, v4
	v_lshlrev_b64 v[16:17], 3, v[16:17]
	v_add_co_ci_u32_e32 v5, vcc_lo, v24, v5, vcc_lo
	v_add_co_u32 v14, vcc_lo, v23, v14
	v_add_co_ci_u32_e32 v15, vcc_lo, v24, v15, vcc_lo
	v_lshlrev_b64 v[18:19], 3, v[18:19]
	v_add_co_u32 v16, vcc_lo, v23, v16
	v_add_co_ci_u32_e32 v17, vcc_lo, v24, v17, vcc_lo
	global_store_dwordx2 v[12:13], v[6:7], off
	s_waitcnt lgkmcnt(1)
	global_store_dwordx2 v[4:5], v[0:1], off
	global_store_dwordx2 v[14:15], v[2:3], off
	s_waitcnt lgkmcnt(0)
	global_store_dwordx2 v[16:17], v[8:9], off
	v_add_nc_u32_e32 v4, 0x4d0, v68
	v_mov_b32_e32 v5, v69
	v_add_co_u32 v0, vcc_lo, v23, v18
	v_add_co_ci_u32_e32 v1, vcc_lo, v24, v19, vcc_lo
	v_add_nc_u32_e32 v2, 0x2400, v22
	v_add_nc_u32_e32 v6, 0x508, v68
	v_mov_b32_e32 v7, v69
	v_lshlrev_b64 v[8:9], 3, v[4:5]
	global_store_dwordx2 v[0:1], v[10:11], off
	ds_read2_b64 v[0:3], v2 offset0:80 offset1:136
	v_add_nc_u32_e32 v12, 0x540, v68
	v_mov_b32_e32 v13, v69
	v_lshlrev_b64 v[10:11], 3, v[6:7]
	ds_read2_b64 v[4:7], v25 offset0:64 offset1:120
	v_add_co_u32 v14, vcc_lo, v23, v8
	v_add_co_ci_u32_e32 v15, vcc_lo, v24, v9, vcc_lo
	v_lshlrev_b64 v[8:9], 3, v[12:13]
	v_add_co_u32 v12, vcc_lo, v23, v10
	v_add_co_ci_u32_e32 v13, vcc_lo, v24, v11, vcc_lo
	v_add_nc_u32_e32 v16, 0x578, v68
	v_add_co_u32 v18, vcc_lo, v23, v8
	v_mov_b32_e32 v17, v69
	v_add_co_ci_u32_e32 v19, vcc_lo, v24, v9, vcc_lo
	ds_read2_b64 v[8:11], v25 offset0:176 offset1:232
	s_waitcnt lgkmcnt(2)
	global_store_dwordx2 v[14:15], v[0:1], off
	global_store_dwordx2 v[12:13], v[2:3], off
	s_waitcnt lgkmcnt(1)
	global_store_dwordx2 v[18:19], v[4:5], off
	v_lshlrev_b64 v[16:17], 3, v[16:17]
	v_lshlrev_b64 v[0:1], 3, v[20:21]
	v_add_nc_u32_e32 v14, 0x3000, v22
	v_add_nc_u32_e32 v4, 0x5e8, v68
	v_mov_b32_e32 v5, v69
	v_add_nc_u32_e32 v12, 0x620, v68
	v_add_co_u32 v2, vcc_lo, v23, v16
	v_add_co_ci_u32_e32 v3, vcc_lo, v24, v17, vcc_lo
	v_add_co_u32 v0, vcc_lo, v23, v0
	v_add_co_ci_u32_e32 v1, vcc_lo, v24, v1, vcc_lo
	global_store_dwordx2 v[2:3], v[6:7], off
	s_waitcnt lgkmcnt(0)
	global_store_dwordx2 v[0:1], v[8:9], off
	v_mov_b32_e32 v13, v69
	ds_read2_b64 v[0:3], v14 offset0:32 offset1:88
	v_lshlrev_b64 v[4:5], 3, v[4:5]
	v_add_nc_u32_e32 v8, 0x658, v68
	v_mov_b32_e32 v9, v69
	v_lshlrev_b64 v[6:7], 3, v[12:13]
	v_add_nc_u32_e32 v12, 0x690, v68
	v_mov_b32_e32 v15, v69
	v_add_co_u32 v4, vcc_lo, v23, v4
	v_lshlrev_b64 v[8:9], 3, v[8:9]
	v_add_co_ci_u32_e32 v5, vcc_lo, v24, v5, vcc_lo
	v_add_co_u32 v6, vcc_lo, v23, v6
	v_add_co_ci_u32_e32 v7, vcc_lo, v24, v7, vcc_lo
	v_add_co_u32 v8, vcc_lo, v23, v8
	v_add_co_ci_u32_e32 v9, vcc_lo, v24, v9, vcc_lo
	global_store_dwordx2 v[4:5], v[10:11], off
	s_waitcnt lgkmcnt(0)
	global_store_dwordx2 v[6:7], v[0:1], off
	global_store_dwordx2 v[8:9], v[2:3], off
	v_lshlrev_b64 v[4:5], 3, v[12:13]
	ds_read2_b64 v[0:3], v14 offset0:144 offset1:200
	v_add_nc_u32_e32 v6, 0x6c8, v68
	v_mov_b32_e32 v7, v69
	v_add_nc_u32_e32 v14, 0x3800, v22
	v_add_nc_u32_e32 v8, 0x700, v68
	v_mov_b32_e32 v9, v69
	v_add_co_u32 v10, vcc_lo, v23, v4
	v_add_co_ci_u32_e32 v11, vcc_lo, v24, v5, vcc_lo
	v_lshlrev_b64 v[12:13], 3, v[6:7]
	ds_read2_b64 v[4:7], v14 offset1:56
	v_add_nc_u32_e32 v14, 0x738, v68
	ds_read_b64 v[16:17], v22 offset:15232
	v_lshlrev_b64 v[8:9], 3, v[8:9]
	v_add_nc_u32_e32 v68, 0x770, v68
	v_add_co_u32 v12, vcc_lo, v23, v12
	v_lshlrev_b64 v[14:15], 3, v[14:15]
	v_add_co_ci_u32_e32 v13, vcc_lo, v24, v13, vcc_lo
	v_add_co_u32 v8, vcc_lo, v23, v8
	v_lshlrev_b64 v[18:19], 3, v[68:69]
	v_add_co_ci_u32_e32 v9, vcc_lo, v24, v9, vcc_lo
	v_add_co_u32 v14, vcc_lo, v23, v14
	v_add_co_ci_u32_e32 v15, vcc_lo, v24, v15, vcc_lo
	v_add_co_u32 v18, vcc_lo, v23, v18
	v_add_co_ci_u32_e32 v19, vcc_lo, v24, v19, vcc_lo
	s_waitcnt lgkmcnt(2)
	global_store_dwordx2 v[10:11], v[0:1], off
	global_store_dwordx2 v[12:13], v[2:3], off
	s_waitcnt lgkmcnt(1)
	global_store_dwordx2 v[8:9], v[4:5], off
	global_store_dwordx2 v[14:15], v[6:7], off
	s_waitcnt lgkmcnt(0)
	global_store_dwordx2 v[18:19], v[16:17], off
.LBB0_27:
	s_endpgm
	.section	.rodata,"a",@progbits
	.p2align	6, 0x0
	.amdhsa_kernel fft_rtc_back_len1960_factors_4_7_2_7_5_wgs_56_tpt_56_halfLds_sp_ip_CI_unitstride_sbrr_C2R_dirReg
		.amdhsa_group_segment_fixed_size 0
		.amdhsa_private_segment_fixed_size 0
		.amdhsa_kernarg_size 88
		.amdhsa_user_sgpr_count 6
		.amdhsa_user_sgpr_private_segment_buffer 1
		.amdhsa_user_sgpr_dispatch_ptr 0
		.amdhsa_user_sgpr_queue_ptr 0
		.amdhsa_user_sgpr_kernarg_segment_ptr 1
		.amdhsa_user_sgpr_dispatch_id 0
		.amdhsa_user_sgpr_flat_scratch_init 0
		.amdhsa_user_sgpr_private_segment_size 0
		.amdhsa_wavefront_size32 1
		.amdhsa_uses_dynamic_stack 0
		.amdhsa_system_sgpr_private_segment_wavefront_offset 0
		.amdhsa_system_sgpr_workgroup_id_x 1
		.amdhsa_system_sgpr_workgroup_id_y 0
		.amdhsa_system_sgpr_workgroup_id_z 0
		.amdhsa_system_sgpr_workgroup_info 0
		.amdhsa_system_vgpr_workitem_id 0
		.amdhsa_next_free_vgpr 159
		.amdhsa_next_free_sgpr 21
		.amdhsa_reserve_vcc 1
		.amdhsa_reserve_flat_scratch 0
		.amdhsa_float_round_mode_32 0
		.amdhsa_float_round_mode_16_64 0
		.amdhsa_float_denorm_mode_32 3
		.amdhsa_float_denorm_mode_16_64 3
		.amdhsa_dx10_clamp 1
		.amdhsa_ieee_mode 1
		.amdhsa_fp16_overflow 0
		.amdhsa_workgroup_processor_mode 1
		.amdhsa_memory_ordered 1
		.amdhsa_forward_progress 0
		.amdhsa_shared_vgpr_count 0
		.amdhsa_exception_fp_ieee_invalid_op 0
		.amdhsa_exception_fp_denorm_src 0
		.amdhsa_exception_fp_ieee_div_zero 0
		.amdhsa_exception_fp_ieee_overflow 0
		.amdhsa_exception_fp_ieee_underflow 0
		.amdhsa_exception_fp_ieee_inexact 0
		.amdhsa_exception_int_div_zero 0
	.end_amdhsa_kernel
	.text
.Lfunc_end0:
	.size	fft_rtc_back_len1960_factors_4_7_2_7_5_wgs_56_tpt_56_halfLds_sp_ip_CI_unitstride_sbrr_C2R_dirReg, .Lfunc_end0-fft_rtc_back_len1960_factors_4_7_2_7_5_wgs_56_tpt_56_halfLds_sp_ip_CI_unitstride_sbrr_C2R_dirReg
                                        ; -- End function
	.section	.AMDGPU.csdata,"",@progbits
; Kernel info:
; codeLenInByte = 21328
; NumSgprs: 23
; NumVgprs: 159
; ScratchSize: 0
; MemoryBound: 0
; FloatMode: 240
; IeeeMode: 1
; LDSByteSize: 0 bytes/workgroup (compile time only)
; SGPRBlocks: 2
; VGPRBlocks: 19
; NumSGPRsForWavesPerEU: 23
; NumVGPRsForWavesPerEU: 159
; Occupancy: 6
; WaveLimiterHint : 1
; COMPUTE_PGM_RSRC2:SCRATCH_EN: 0
; COMPUTE_PGM_RSRC2:USER_SGPR: 6
; COMPUTE_PGM_RSRC2:TRAP_HANDLER: 0
; COMPUTE_PGM_RSRC2:TGID_X_EN: 1
; COMPUTE_PGM_RSRC2:TGID_Y_EN: 0
; COMPUTE_PGM_RSRC2:TGID_Z_EN: 0
; COMPUTE_PGM_RSRC2:TIDIG_COMP_CNT: 0
	.text
	.p2alignl 6, 3214868480
	.fill 48, 4, 3214868480
	.type	__hip_cuid_dece4f76a6f28e6e,@object ; @__hip_cuid_dece4f76a6f28e6e
	.section	.bss,"aw",@nobits
	.globl	__hip_cuid_dece4f76a6f28e6e
__hip_cuid_dece4f76a6f28e6e:
	.byte	0                               ; 0x0
	.size	__hip_cuid_dece4f76a6f28e6e, 1

	.ident	"AMD clang version 19.0.0git (https://github.com/RadeonOpenCompute/llvm-project roc-6.4.0 25133 c7fe45cf4b819c5991fe208aaa96edf142730f1d)"
	.section	".note.GNU-stack","",@progbits
	.addrsig
	.addrsig_sym __hip_cuid_dece4f76a6f28e6e
	.amdgpu_metadata
---
amdhsa.kernels:
  - .args:
      - .actual_access:  read_only
        .address_space:  global
        .offset:         0
        .size:           8
        .value_kind:     global_buffer
      - .offset:         8
        .size:           8
        .value_kind:     by_value
      - .actual_access:  read_only
        .address_space:  global
        .offset:         16
        .size:           8
        .value_kind:     global_buffer
      - .actual_access:  read_only
        .address_space:  global
        .offset:         24
        .size:           8
        .value_kind:     global_buffer
      - .offset:         32
        .size:           8
        .value_kind:     by_value
      - .actual_access:  read_only
        .address_space:  global
        .offset:         40
        .size:           8
        .value_kind:     global_buffer
      - .actual_access:  read_only
        .address_space:  global
        .offset:         48
        .size:           8
        .value_kind:     global_buffer
      - .offset:         56
        .size:           4
        .value_kind:     by_value
      - .actual_access:  read_only
        .address_space:  global
        .offset:         64
        .size:           8
        .value_kind:     global_buffer
      - .actual_access:  read_only
        .address_space:  global
        .offset:         72
        .size:           8
        .value_kind:     global_buffer
      - .address_space:  global
        .offset:         80
        .size:           8
        .value_kind:     global_buffer
    .group_segment_fixed_size: 0
    .kernarg_segment_align: 8
    .kernarg_segment_size: 88
    .language:       OpenCL C
    .language_version:
      - 2
      - 0
    .max_flat_workgroup_size: 56
    .name:           fft_rtc_back_len1960_factors_4_7_2_7_5_wgs_56_tpt_56_halfLds_sp_ip_CI_unitstride_sbrr_C2R_dirReg
    .private_segment_fixed_size: 0
    .sgpr_count:     23
    .sgpr_spill_count: 0
    .symbol:         fft_rtc_back_len1960_factors_4_7_2_7_5_wgs_56_tpt_56_halfLds_sp_ip_CI_unitstride_sbrr_C2R_dirReg.kd
    .uniform_work_group_size: 1
    .uses_dynamic_stack: false
    .vgpr_count:     159
    .vgpr_spill_count: 0
    .wavefront_size: 32
    .workgroup_processor_mode: 1
amdhsa.target:   amdgcn-amd-amdhsa--gfx1030
amdhsa.version:
  - 1
  - 2
...

	.end_amdgpu_metadata
